;; amdgpu-corpus repo=ROCm/rocFFT kind=compiled arch=gfx1201 opt=O3
	.text
	.amdgcn_target "amdgcn-amd-amdhsa--gfx1201"
	.amdhsa_code_object_version 6
	.protected	fft_rtc_fwd_len858_factors_13_11_6_wgs_234_tpt_78_halfLds_sp_op_CI_CI_unitstride_sbrr_R2C_dirReg ; -- Begin function fft_rtc_fwd_len858_factors_13_11_6_wgs_234_tpt_78_halfLds_sp_op_CI_CI_unitstride_sbrr_R2C_dirReg
	.globl	fft_rtc_fwd_len858_factors_13_11_6_wgs_234_tpt_78_halfLds_sp_op_CI_CI_unitstride_sbrr_R2C_dirReg
	.p2align	8
	.type	fft_rtc_fwd_len858_factors_13_11_6_wgs_234_tpt_78_halfLds_sp_op_CI_CI_unitstride_sbrr_R2C_dirReg,@function
fft_rtc_fwd_len858_factors_13_11_6_wgs_234_tpt_78_halfLds_sp_op_CI_CI_unitstride_sbrr_R2C_dirReg: ; @fft_rtc_fwd_len858_factors_13_11_6_wgs_234_tpt_78_halfLds_sp_op_CI_CI_unitstride_sbrr_R2C_dirReg
; %bb.0:
	s_load_b128 s[8:11], s[0:1], 0x0
	v_mul_u32_u24_e32 v1, 0x349, v0
	s_clause 0x1
	s_load_b128 s[4:7], s[0:1], 0x58
	s_load_b128 s[12:15], s[0:1], 0x18
	v_mov_b32_e32 v5, 0
	v_lshrrev_b32_e32 v3, 16, v1
	v_mov_b32_e32 v1, 0
	v_mov_b32_e32 v2, 0
	s_delay_alu instid0(VALU_DEP_3) | instskip(NEXT) | instid1(VALU_DEP_2)
	v_mad_co_u64_u32 v[3:4], null, ttmp9, 3, v[3:4]
	v_dual_mov_b32 v4, v5 :: v_dual_mov_b32 v33, v2
	s_delay_alu instid0(VALU_DEP_1) | instskip(NEXT) | instid1(VALU_DEP_3)
	v_dual_mov_b32 v32, v1 :: v_dual_mov_b32 v37, v4
	v_mov_b32_e32 v36, v3
	s_wait_kmcnt 0x0
	v_cmp_lt_u64_e64 s2, s[10:11], 2
	s_delay_alu instid0(VALU_DEP_1)
	s_and_b32 vcc_lo, exec_lo, s2
	s_cbranch_vccnz .LBB0_8
; %bb.1:
	s_load_b64 s[2:3], s[0:1], 0x10
	v_dual_mov_b32 v1, 0 :: v_dual_mov_b32 v8, v4
	v_dual_mov_b32 v2, 0 :: v_dual_mov_b32 v7, v3
	s_add_nc_u64 s[16:17], s[14:15], 8
	s_add_nc_u64 s[18:19], s[12:13], 8
	s_mov_b64 s[20:21], 1
	s_delay_alu instid0(VALU_DEP_1)
	v_dual_mov_b32 v33, v2 :: v_dual_mov_b32 v32, v1
	s_wait_kmcnt 0x0
	s_add_nc_u64 s[22:23], s[2:3], 8
	s_mov_b32 s3, 0
.LBB0_2:                                ; =>This Inner Loop Header: Depth=1
	s_load_b64 s[24:25], s[22:23], 0x0
                                        ; implicit-def: $vgpr36_vgpr37
	s_mov_b32 s2, exec_lo
	s_wait_kmcnt 0x0
	v_or_b32_e32 v6, s25, v8
	s_delay_alu instid0(VALU_DEP_1)
	v_cmpx_ne_u64_e32 0, v[5:6]
	s_wait_alu 0xfffe
	s_xor_b32 s26, exec_lo, s2
	s_cbranch_execz .LBB0_4
; %bb.3:                                ;   in Loop: Header=BB0_2 Depth=1
	s_cvt_f32_u32 s2, s24
	s_cvt_f32_u32 s27, s25
	s_sub_nc_u64 s[30:31], 0, s[24:25]
	s_wait_alu 0xfffe
	s_delay_alu instid0(SALU_CYCLE_1) | instskip(SKIP_1) | instid1(SALU_CYCLE_2)
	s_fmamk_f32 s2, s27, 0x4f800000, s2
	s_wait_alu 0xfffe
	v_s_rcp_f32 s2, s2
	s_delay_alu instid0(TRANS32_DEP_1) | instskip(SKIP_1) | instid1(SALU_CYCLE_2)
	s_mul_f32 s2, s2, 0x5f7ffffc
	s_wait_alu 0xfffe
	s_mul_f32 s27, s2, 0x2f800000
	s_wait_alu 0xfffe
	s_delay_alu instid0(SALU_CYCLE_2) | instskip(SKIP_1) | instid1(SALU_CYCLE_2)
	s_trunc_f32 s27, s27
	s_wait_alu 0xfffe
	s_fmamk_f32 s2, s27, 0xcf800000, s2
	s_cvt_u32_f32 s29, s27
	s_wait_alu 0xfffe
	s_delay_alu instid0(SALU_CYCLE_1) | instskip(SKIP_1) | instid1(SALU_CYCLE_2)
	s_cvt_u32_f32 s28, s2
	s_wait_alu 0xfffe
	s_mul_u64 s[34:35], s[30:31], s[28:29]
	s_wait_alu 0xfffe
	s_mul_hi_u32 s37, s28, s35
	s_mul_i32 s36, s28, s35
	s_mul_hi_u32 s2, s28, s34
	s_mul_i32 s33, s29, s34
	s_wait_alu 0xfffe
	s_add_nc_u64 s[36:37], s[2:3], s[36:37]
	s_mul_hi_u32 s27, s29, s34
	s_mul_hi_u32 s38, s29, s35
	s_add_co_u32 s2, s36, s33
	s_wait_alu 0xfffe
	s_add_co_ci_u32 s2, s37, s27
	s_mul_i32 s34, s29, s35
	s_add_co_ci_u32 s35, s38, 0
	s_wait_alu 0xfffe
	s_add_nc_u64 s[34:35], s[2:3], s[34:35]
	s_wait_alu 0xfffe
	v_add_co_u32 v4, s2, s28, s34
	s_delay_alu instid0(VALU_DEP_1) | instskip(SKIP_1) | instid1(VALU_DEP_1)
	s_cmp_lg_u32 s2, 0
	s_add_co_ci_u32 s29, s29, s35
	v_readfirstlane_b32 s28, v4
	s_wait_alu 0xfffe
	s_delay_alu instid0(VALU_DEP_1)
	s_mul_u64 s[30:31], s[30:31], s[28:29]
	s_wait_alu 0xfffe
	s_mul_hi_u32 s35, s28, s31
	s_mul_i32 s34, s28, s31
	s_mul_hi_u32 s2, s28, s30
	s_mul_i32 s33, s29, s30
	s_wait_alu 0xfffe
	s_add_nc_u64 s[34:35], s[2:3], s[34:35]
	s_mul_hi_u32 s27, s29, s30
	s_mul_hi_u32 s28, s29, s31
	s_wait_alu 0xfffe
	s_add_co_u32 s2, s34, s33
	s_add_co_ci_u32 s2, s35, s27
	s_mul_i32 s30, s29, s31
	s_add_co_ci_u32 s31, s28, 0
	s_wait_alu 0xfffe
	s_add_nc_u64 s[30:31], s[2:3], s[30:31]
	s_wait_alu 0xfffe
	v_add_co_u32 v4, s2, v4, s30
	s_delay_alu instid0(VALU_DEP_1) | instskip(SKIP_1) | instid1(VALU_DEP_1)
	s_cmp_lg_u32 s2, 0
	s_add_co_ci_u32 s2, s29, s31
	v_mul_hi_u32 v6, v7, v4
	s_wait_alu 0xfffe
	v_mad_co_u64_u32 v[9:10], null, v7, s2, 0
	v_mad_co_u64_u32 v[11:12], null, v8, v4, 0
	;; [unrolled: 1-line block ×3, first 2 shown]
	s_delay_alu instid0(VALU_DEP_3) | instskip(SKIP_1) | instid1(VALU_DEP_4)
	v_add_co_u32 v4, vcc_lo, v6, v9
	s_wait_alu 0xfffd
	v_add_co_ci_u32_e32 v6, vcc_lo, 0, v10, vcc_lo
	s_delay_alu instid0(VALU_DEP_2) | instskip(SKIP_1) | instid1(VALU_DEP_2)
	v_add_co_u32 v4, vcc_lo, v4, v11
	s_wait_alu 0xfffd
	v_add_co_ci_u32_e32 v4, vcc_lo, v6, v12, vcc_lo
	s_wait_alu 0xfffd
	v_add_co_ci_u32_e32 v6, vcc_lo, 0, v14, vcc_lo
	s_delay_alu instid0(VALU_DEP_2) | instskip(SKIP_1) | instid1(VALU_DEP_2)
	v_add_co_u32 v4, vcc_lo, v4, v13
	s_wait_alu 0xfffd
	v_add_co_ci_u32_e32 v6, vcc_lo, 0, v6, vcc_lo
	s_delay_alu instid0(VALU_DEP_2) | instskip(SKIP_1) | instid1(VALU_DEP_3)
	v_mul_lo_u32 v11, s25, v4
	v_mad_co_u64_u32 v[9:10], null, s24, v4, 0
	v_mul_lo_u32 v12, s24, v6
	s_delay_alu instid0(VALU_DEP_2) | instskip(NEXT) | instid1(VALU_DEP_2)
	v_sub_co_u32 v9, vcc_lo, v7, v9
	v_add3_u32 v10, v10, v12, v11
	s_delay_alu instid0(VALU_DEP_1) | instskip(SKIP_1) | instid1(VALU_DEP_1)
	v_sub_nc_u32_e32 v11, v8, v10
	s_wait_alu 0xfffd
	v_subrev_co_ci_u32_e64 v11, s2, s25, v11, vcc_lo
	v_add_co_u32 v12, s2, v4, 2
	s_wait_alu 0xf1ff
	v_add_co_ci_u32_e64 v13, s2, 0, v6, s2
	v_sub_co_u32 v14, s2, v9, s24
	v_sub_co_ci_u32_e32 v10, vcc_lo, v8, v10, vcc_lo
	s_wait_alu 0xf1ff
	v_subrev_co_ci_u32_e64 v11, s2, 0, v11, s2
	s_delay_alu instid0(VALU_DEP_3) | instskip(NEXT) | instid1(VALU_DEP_3)
	v_cmp_le_u32_e32 vcc_lo, s24, v14
	v_cmp_eq_u32_e64 s2, s25, v10
	s_wait_alu 0xfffd
	v_cndmask_b32_e64 v14, 0, -1, vcc_lo
	v_cmp_le_u32_e32 vcc_lo, s25, v11
	s_wait_alu 0xfffd
	v_cndmask_b32_e64 v15, 0, -1, vcc_lo
	v_cmp_le_u32_e32 vcc_lo, s24, v9
	;; [unrolled: 3-line block ×3, first 2 shown]
	s_wait_alu 0xfffd
	v_cndmask_b32_e64 v16, 0, -1, vcc_lo
	v_cmp_eq_u32_e32 vcc_lo, s25, v11
	s_wait_alu 0xf1ff
	s_delay_alu instid0(VALU_DEP_2)
	v_cndmask_b32_e64 v9, v16, v9, s2
	s_wait_alu 0xfffd
	v_cndmask_b32_e32 v11, v15, v14, vcc_lo
	v_add_co_u32 v14, vcc_lo, v4, 1
	s_wait_alu 0xfffd
	v_add_co_ci_u32_e32 v15, vcc_lo, 0, v6, vcc_lo
	s_delay_alu instid0(VALU_DEP_3) | instskip(SKIP_1) | instid1(VALU_DEP_2)
	v_cmp_ne_u32_e32 vcc_lo, 0, v11
	s_wait_alu 0xfffd
	v_dual_cndmask_b32 v10, v15, v13 :: v_dual_cndmask_b32 v11, v14, v12
	v_cmp_ne_u32_e32 vcc_lo, 0, v9
	s_wait_alu 0xfffd
	s_delay_alu instid0(VALU_DEP_2)
	v_dual_cndmask_b32 v37, v6, v10 :: v_dual_cndmask_b32 v36, v4, v11
.LBB0_4:                                ;   in Loop: Header=BB0_2 Depth=1
	s_wait_alu 0xfffe
	s_and_not1_saveexec_b32 s2, s26
	s_cbranch_execz .LBB0_6
; %bb.5:                                ;   in Loop: Header=BB0_2 Depth=1
	v_cvt_f32_u32_e32 v4, s24
	s_sub_co_i32 s26, 0, s24
	v_mov_b32_e32 v37, v5
	s_delay_alu instid0(VALU_DEP_2) | instskip(NEXT) | instid1(TRANS32_DEP_1)
	v_rcp_iflag_f32_e32 v4, v4
	v_mul_f32_e32 v4, 0x4f7ffffe, v4
	s_delay_alu instid0(VALU_DEP_1) | instskip(SKIP_1) | instid1(VALU_DEP_1)
	v_cvt_u32_f32_e32 v4, v4
	s_wait_alu 0xfffe
	v_mul_lo_u32 v6, s26, v4
	s_delay_alu instid0(VALU_DEP_1) | instskip(NEXT) | instid1(VALU_DEP_1)
	v_mul_hi_u32 v6, v4, v6
	v_add_nc_u32_e32 v4, v4, v6
	s_delay_alu instid0(VALU_DEP_1) | instskip(NEXT) | instid1(VALU_DEP_1)
	v_mul_hi_u32 v4, v7, v4
	v_mul_lo_u32 v6, v4, s24
	s_delay_alu instid0(VALU_DEP_1) | instskip(NEXT) | instid1(VALU_DEP_1)
	v_sub_nc_u32_e32 v6, v7, v6
	v_subrev_nc_u32_e32 v10, s24, v6
	v_cmp_le_u32_e32 vcc_lo, s24, v6
	s_wait_alu 0xfffd
	s_delay_alu instid0(VALU_DEP_2) | instskip(NEXT) | instid1(VALU_DEP_1)
	v_dual_cndmask_b32 v6, v6, v10 :: v_dual_add_nc_u32 v9, 1, v4
	v_cndmask_b32_e32 v4, v4, v9, vcc_lo
	s_delay_alu instid0(VALU_DEP_2) | instskip(NEXT) | instid1(VALU_DEP_2)
	v_cmp_le_u32_e32 vcc_lo, s24, v6
	v_add_nc_u32_e32 v9, 1, v4
	s_wait_alu 0xfffd
	s_delay_alu instid0(VALU_DEP_1)
	v_cndmask_b32_e32 v36, v4, v9, vcc_lo
.LBB0_6:                                ;   in Loop: Header=BB0_2 Depth=1
	s_wait_alu 0xfffe
	s_or_b32 exec_lo, exec_lo, s2
	v_mul_lo_u32 v4, v37, s24
	s_delay_alu instid0(VALU_DEP_2)
	v_mul_lo_u32 v6, v36, s25
	s_load_b64 s[26:27], s[18:19], 0x0
	v_mad_co_u64_u32 v[9:10], null, v36, s24, 0
	s_load_b64 s[24:25], s[16:17], 0x0
	s_add_nc_u64 s[20:21], s[20:21], 1
	s_add_nc_u64 s[16:17], s[16:17], 8
	s_wait_alu 0xfffe
	v_cmp_ge_u64_e64 s2, s[20:21], s[10:11]
	s_add_nc_u64 s[18:19], s[18:19], 8
	s_add_nc_u64 s[22:23], s[22:23], 8
	v_add3_u32 v4, v10, v6, v4
	v_sub_co_u32 v6, vcc_lo, v7, v9
	s_wait_alu 0xfffd
	s_delay_alu instid0(VALU_DEP_2) | instskip(SKIP_2) | instid1(VALU_DEP_1)
	v_sub_co_ci_u32_e32 v4, vcc_lo, v8, v4, vcc_lo
	s_and_b32 vcc_lo, exec_lo, s2
	s_wait_kmcnt 0x0
	v_mul_lo_u32 v7, s26, v4
	v_mul_lo_u32 v8, s27, v6
	v_mad_co_u64_u32 v[1:2], null, s26, v6, v[1:2]
	v_mul_lo_u32 v4, s24, v4
	v_mul_lo_u32 v9, s25, v6
	v_mad_co_u64_u32 v[32:33], null, s24, v6, v[32:33]
	s_delay_alu instid0(VALU_DEP_4) | instskip(NEXT) | instid1(VALU_DEP_2)
	v_add3_u32 v2, v8, v2, v7
	v_add3_u32 v33, v9, v33, v4
	s_wait_alu 0xfffe
	s_cbranch_vccnz .LBB0_8
; %bb.7:                                ;   in Loop: Header=BB0_2 Depth=1
	v_dual_mov_b32 v7, v36 :: v_dual_mov_b32 v8, v37
	s_branch .LBB0_2
.LBB0_8:
	s_load_b64 s[0:1], s[0:1], 0x28
	v_mul_hi_u32 v4, 0xaaaaaaab, v3
                                        ; implicit-def: $vgpr34
	s_delay_alu instid0(VALU_DEP_1) | instskip(NEXT) | instid1(VALU_DEP_1)
	v_lshrrev_b32_e32 v4, 1, v4
	v_lshl_add_u32 v5, v4, 1, v4
	v_mul_hi_u32 v4, 0x3483484, v0
	s_delay_alu instid0(VALU_DEP_2) | instskip(SKIP_3) | instid1(VALU_DEP_1)
	v_sub_nc_u32_e32 v3, v3, v5
	s_wait_kmcnt 0x0
	v_cmp_gt_u64_e32 vcc_lo, s[0:1], v[36:37]
	v_cmp_le_u64_e64 s0, s[0:1], v[36:37]
	s_and_saveexec_b32 s1, s0
	s_wait_alu 0xfffe
	s_xor_b32 s0, exec_lo, s1
; %bb.9:
	v_mul_u32_u24_e32 v1, 0x4e, v4
                                        ; implicit-def: $vgpr4
	s_delay_alu instid0(VALU_DEP_1)
	v_sub_nc_u32_e32 v34, v0, v1
                                        ; implicit-def: $vgpr0
                                        ; implicit-def: $vgpr1_vgpr2
; %bb.10:
	s_wait_alu 0xfffe
	s_or_saveexec_b32 s1, s0
	v_mul_u32_u24_e32 v3, 0x35b, v3
	s_lshl_b64 s[2:3], s[10:11], 3
	s_delay_alu instid0(VALU_DEP_1)
	v_lshlrev_b32_e32 v43, 3, v3
	s_wait_alu 0xfffe
	s_xor_b32 exec_lo, exec_lo, s1
	s_cbranch_execz .LBB0_12
; %bb.11:
	s_add_nc_u64 s[10:11], s[12:13], s[2:3]
	v_lshlrev_b64_e32 v[1:2], 3, v[1:2]
	s_load_b64 s[10:11], s[10:11], 0x0
	s_wait_kmcnt 0x0
	v_mul_lo_u32 v3, s11, v36
	v_mul_lo_u32 v7, s10, v37
	v_mad_co_u64_u32 v[5:6], null, s10, v36, 0
	s_delay_alu instid0(VALU_DEP_1) | instskip(SKIP_1) | instid1(VALU_DEP_2)
	v_add3_u32 v6, v6, v7, v3
	v_mul_u32_u24_e32 v7, 0x4e, v4
	v_lshlrev_b64_e32 v[3:4], 3, v[5:6]
	s_delay_alu instid0(VALU_DEP_2) | instskip(NEXT) | instid1(VALU_DEP_1)
	v_sub_nc_u32_e32 v34, v0, v7
	v_lshlrev_b32_e32 v22, 3, v34
	s_delay_alu instid0(VALU_DEP_3) | instskip(SKIP_1) | instid1(VALU_DEP_4)
	v_add_co_u32 v0, s0, s4, v3
	s_wait_alu 0xf1ff
	v_add_co_ci_u32_e64 v3, s0, s5, v4, s0
	s_delay_alu instid0(VALU_DEP_2) | instskip(SKIP_1) | instid1(VALU_DEP_2)
	v_add_co_u32 v0, s0, v0, v1
	s_wait_alu 0xf1ff
	v_add_co_ci_u32_e64 v1, s0, v3, v2, s0
	s_delay_alu instid0(VALU_DEP_2) | instskip(SKIP_1) | instid1(VALU_DEP_2)
	v_add_co_u32 v0, s0, v0, v22
	s_wait_alu 0xf1ff
	v_add_co_ci_u32_e64 v1, s0, 0, v1, s0
	s_clause 0xa
	global_load_b64 v[2:3], v[0:1], off
	global_load_b64 v[4:5], v[0:1], off offset:624
	global_load_b64 v[6:7], v[0:1], off offset:1248
	global_load_b64 v[8:9], v[0:1], off offset:1872
	global_load_b64 v[10:11], v[0:1], off offset:2496
	global_load_b64 v[12:13], v[0:1], off offset:3120
	global_load_b64 v[14:15], v[0:1], off offset:3744
	global_load_b64 v[16:17], v[0:1], off offset:4368
	global_load_b64 v[18:19], v[0:1], off offset:4992
	global_load_b64 v[20:21], v[0:1], off offset:5616
	global_load_b64 v[0:1], v[0:1], off offset:6240
	v_add3_u32 v22, 0, v43, v22
	s_delay_alu instid0(VALU_DEP_1)
	v_add_nc_u32_e32 v23, 0x800, v22
	v_add_nc_u32_e32 v24, 0xc00, v22
	;; [unrolled: 1-line block ×3, first 2 shown]
	s_wait_loadcnt 0x9
	ds_store_2addr_b64 v22, v[2:3], v[4:5] offset1:78
	s_wait_loadcnt 0x7
	ds_store_2addr_b64 v22, v[6:7], v[8:9] offset0:156 offset1:234
	s_wait_loadcnt 0x5
	ds_store_2addr_b64 v23, v[10:11], v[12:13] offset0:56 offset1:134
	;; [unrolled: 2-line block ×4, first 2 shown]
	s_wait_loadcnt 0x0
	ds_store_b64 v22, v[0:1] offset:6240
.LBB0_12:
	s_or_b32 exec_lo, exec_lo, s1
	v_lshlrev_b32_e32 v35, 3, v34
	global_wb scope:SCOPE_SE
	s_wait_dscnt 0x0
	s_barrier_signal -1
	s_barrier_wait -1
	global_inv scope:SCOPE_SE
	v_add3_u32 v40, 0, v35, v43
	s_add_nc_u64 s[2:3], s[14:15], s[2:3]
	s_mov_b32 s1, exec_lo
	s_delay_alu instid0(VALU_DEP_1)
	v_add_nc_u32_e32 v0, 0x1400, v40
	ds_load_2addr_b64 v[24:27], v40 offset0:66 offset1:132
	ds_load_2addr_b64 v[4:7], v0 offset0:86 offset1:152
	v_add_nc_u32_e32 v41, 0x400, v40
	v_add_nc_u32_e32 v44, 0x1000, v40
	;; [unrolled: 1-line block ×3, first 2 shown]
	s_wait_dscnt 0x0
	v_dual_add_f32 v31, v5, v27 :: v_dual_add_nc_u32 v0, 0x800, v40
	v_sub_f32_e32 v58, v24, v6
	v_add_f32_e32 v29, v4, v26
	ds_load_2addr_b64 v[20:23], v41 offset0:70 offset1:136
	ds_load_2addr_b64 v[8:11], v44 offset0:82 offset1:148
	v_add_nc_u32_e32 v42, 0xc00, v40
	v_dual_add_f32 v28, v6, v24 :: v_dual_sub_f32 v55, v27, v5
	v_add_nc_u32_e32 v39, v38, v35
	v_dual_add_f32 v49, v7, v25 :: v_dual_sub_f32 v54, v25, v7
	s_wait_dscnt 0x0
	v_dual_sub_f32 v60, v26, v4 :: v_dual_sub_f32 v53, v23, v9
	v_dual_add_f32 v46, v11, v21 :: v_dual_sub_f32 v63, v20, v10
	ds_load_2addr_b64 v[16:19], v0 offset0:74 offset1:140
	ds_load_2addr_b64 v[12:15], v42 offset0:78 offset1:144
	ds_load_b64 v[0:1], v39
	v_dual_mul_f32 v85, 0xbf52af12, v58 :: v_dual_sub_f32 v56, v21, v11
	v_sub_f32_e32 v59, v22, v8
	v_dual_add_f32 v45, v8, v22 :: v_dual_mul_f32 v78, 0xbf6f5d39, v55
	s_delay_alu instid0(VALU_DEP_3)
	v_fma_f32 v3, 0x3f116cb1, v49, -v85
	v_mul_f32_e32 v80, 0xbf52af12, v54
	v_dual_mul_f32 v76, 0xbe750f2a, v56 :: v_dual_mul_f32 v81, 0xbe750f2a, v63
	v_add_f32_e32 v30, v10, v20
	v_add_f32_e32 v48, v9, v23
	v_mul_f32_e32 v82, 0x3f29c268, v59
	global_wb scope:SCOPE_SE
	s_wait_dscnt 0x0
	v_fma_f32 v62, 0xbf788fa5, v46, -v81
	s_barrier_signal -1
	s_barrier_wait -1
	global_inv scope:SCOPE_SE
	v_add_f32_e32 v47, v14, v16
	v_dual_add_f32 v3, v1, v3 :: v_dual_mul_f32 v84, 0xbf6f5d39, v60
	v_dual_fmamk_f32 v2, v28, 0x3f116cb1, v80 :: v_dual_sub_f32 v57, v17, v15
	v_mul_f32_e32 v75, 0x3f29c268, v53
	v_sub_f32_e32 v61, v16, v14
	s_delay_alu instid0(VALU_DEP_4) | instskip(NEXT) | instid1(VALU_DEP_4)
	v_fma_f32 v51, 0xbeb58ec6, v31, -v84
	v_add_f32_e32 v2, v0, v2
	v_fma_f32 v64, 0xbf3f9e67, v48, -v82
	s_delay_alu instid0(VALU_DEP_4) | instskip(NEXT) | instid1(VALU_DEP_4)
	v_mul_f32_e32 v83, 0x3f7e222b, v61
	v_dual_add_f32 v3, v51, v3 :: v_dual_fmamk_f32 v50, v29, 0xbeb58ec6, v78
	v_fmamk_f32 v51, v45, 0xbf3f9e67, v75
	s_delay_alu instid0(VALU_DEP_2) | instskip(SKIP_1) | instid1(VALU_DEP_4)
	v_add_f32_e32 v3, v62, v3
	v_fmamk_f32 v52, v30, 0xbf788fa5, v76
	v_add_f32_e32 v2, v50, v2
	s_delay_alu instid0(VALU_DEP_3) | instskip(SKIP_1) | instid1(VALU_DEP_3)
	v_dual_add_f32 v50, v15, v17 :: v_dual_add_f32 v3, v64, v3
	v_sub_f32_e32 v64, v18, v12
	v_add_f32_e32 v2, v52, v2
	s_delay_alu instid0(VALU_DEP_3) | instskip(SKIP_1) | instid1(VALU_DEP_4)
	v_fma_f32 v66, 0x3df6dbef, v50, -v83
	v_mul_f32_e32 v74, 0x3f7e222b, v57
	v_dual_add_f32 v52, v13, v19 :: v_dual_mul_f32 v79, 0x3eedf032, v64
	s_delay_alu instid0(VALU_DEP_3) | instskip(NEXT) | instid1(VALU_DEP_3)
	v_dual_add_f32 v2, v51, v2 :: v_dual_add_f32 v3, v66, v3
	v_fmamk_f32 v65, v47, 0x3df6dbef, v74
	v_add_f32_e32 v51, v12, v18
	s_delay_alu instid0(VALU_DEP_4) | instskip(NEXT) | instid1(VALU_DEP_1)
	v_fma_f32 v66, 0x3f62ad3f, v52, -v79
	v_dual_sub_f32 v62, v19, v13 :: v_dual_add_f32 v3, v66, v3
	s_delay_alu instid0(VALU_DEP_1) | instskip(NEXT) | instid1(VALU_DEP_1)
	v_mul_f32_e32 v77, 0x3eedf032, v62
	v_dual_add_f32 v2, v65, v2 :: v_dual_fmamk_f32 v65, v51, 0x3f62ad3f, v77
	s_delay_alu instid0(VALU_DEP_1)
	v_add_f32_e32 v2, v65, v2
	v_cmpx_gt_u32_e32 0x42, v34
	s_cbranch_execz .LBB0_14
; %bb.13:
	v_dual_mul_f32 v67, 0x3eedf032, v55 :: v_dual_add_f32 v24, v0, v24
	v_mul_f32_e32 v86, 0xbe750f2a, v58
	v_mul_f32_e32 v93, 0x3f7e222b, v60
	v_dual_mul_f32 v94, 0x3f7e222b, v64 :: v_dual_add_f32 v25, v1, v25
	s_delay_alu instid0(VALU_DEP_4) | instskip(SKIP_1) | instid1(VALU_DEP_4)
	v_fma_f32 v89, 0x3f62ad3f, v29, -v67
	v_mul_f32_e32 v69, 0xbe750f2a, v54
	v_fmamk_f32 v96, v31, 0x3df6dbef, v93
	v_mul_f32_e32 v72, 0xbf29c268, v63
	v_add_f32_e32 v25, v25, v27
	v_fmamk_f32 v65, v49, 0xbf788fa5, v86
	v_fma_f32 v68, 0xbf788fa5, v28, -v69
	v_mul_f32_e32 v71, 0x3f52af12, v59
	v_dual_mul_f32 v101, 0xbf7e222b, v53 :: v_dual_mul_f32 v108, 0xbf7e222b, v54
	s_delay_alu instid0(VALU_DEP_4)
	v_add_f32_e32 v73, v1, v65
	v_mul_f32_e32 v65, 0xbf29c268, v56
	v_add_f32_e32 v68, v0, v68
	v_fmamk_f32 v90, v48, 0x3f116cb1, v71
	v_mul_f32_e32 v87, 0x3eedf032, v60
	v_mul_f32_e32 v103, 0x3e750f2a, v57
	v_fma_f32 v91, 0xbf3f9e67, v30, -v65
	v_add_f32_e32 v68, v89, v68
	v_mul_f32_e32 v70, 0xbf6f5d39, v61
	v_mul_f32_e32 v107, 0xbe750f2a, v60
	v_dual_mul_f32 v109, 0x3f6f5d39, v63 :: v_dual_mul_f32 v112, 0x3f6f5d39, v56
	s_delay_alu instid0(VALU_DEP_4)
	v_dual_add_f32 v91, v91, v68 :: v_dual_fmamk_f32 v88, v46, 0xbf3f9e67, v72
	v_fmamk_f32 v66, v31, 0x3f62ad3f, v87
	v_fmamk_f32 v89, v50, 0xbeb58ec6, v70
	v_mul_f32_e32 v114, 0x3eedf032, v53
	v_mul_f32_e32 v116, 0xbf29c268, v64
	v_fmac_f32_e32 v69, 0xbf788fa5, v28
	v_add_f32_e32 v73, v66, v73
	v_mul_f32_e32 v66, 0x3f52af12, v53
	v_dual_fmac_f32 v67, 0x3f62ad3f, v29 :: v_dual_add_f32 v24, v24, v26
	v_dual_add_f32 v21, v25, v21 :: v_dual_mul_f32 v100, 0x3eedf032, v56
	s_delay_alu instid0(VALU_DEP_3) | instskip(SKIP_1) | instid1(VALU_DEP_3)
	v_fma_f32 v92, 0x3f116cb1, v45, -v66
	v_mul_f32_e32 v104, 0xbf7e222b, v58
	v_dual_add_f32 v20, v24, v20 :: v_dual_add_f32 v21, v21, v23
	s_delay_alu instid0(VALU_DEP_3) | instskip(SKIP_2) | instid1(VALU_DEP_4)
	v_dual_mul_f32 v102, 0x3e750f2a, v61 :: v_dual_add_f32 v91, v92, v91
	v_dual_add_f32 v73, v88, v73 :: v_dual_mul_f32 v88, 0xbf29c268, v58
	v_mul_f32_e32 v68, 0xbf6f5d39, v57
	v_add_f32_e32 v20, v20, v22
	v_dual_mul_f32 v22, 0xbf52af12, v56 :: v_dual_add_f32 v17, v21, v17
	s_delay_alu instid0(VALU_DEP_4) | instskip(NEXT) | instid1(VALU_DEP_4)
	v_dual_add_f32 v90, v90, v73 :: v_dual_fmamk_f32 v73, v49, 0xbf3f9e67, v88
	v_fma_f32 v92, 0xbeb58ec6, v47, -v68
	s_delay_alu instid0(VALU_DEP_4) | instskip(SKIP_1) | instid1(VALU_DEP_4)
	v_add_f32_e32 v16, v20, v16
	v_mul_f32_e32 v98, 0x3e750f2a, v53
	v_dual_mul_f32 v56, 0xbf7e222b, v56 :: v_dual_add_f32 v95, v1, v73
	v_mul_f32_e32 v73, 0xbf52af12, v63
	v_add_f32_e32 v91, v92, v91
	v_dual_add_f32 v18, v16, v18 :: v_dual_mul_f32 v99, 0x3eedf032, v57
	s_delay_alu instid0(VALU_DEP_3) | instskip(NEXT) | instid1(VALU_DEP_2)
	v_dual_add_f32 v92, v96, v95 :: v_dual_fmamk_f32 v95, v46, 0x3f116cb1, v73
	v_dual_mul_f32 v23, 0x3f7e222b, v62 :: v_dual_add_f32 v12, v18, v12
	v_mul_f32_e32 v106, 0x3f52af12, v62
	v_mul_f32_e32 v110, 0xbe750f2a, v55
	s_delay_alu instid0(VALU_DEP_4) | instskip(SKIP_3) | instid1(VALU_DEP_4)
	v_dual_add_f32 v92, v95, v92 :: v_dual_mul_f32 v97, 0xbf29c268, v54
	v_mul_f32_e32 v95, 0x3f7e222b, v55
	v_dual_add_f32 v89, v89, v90 :: v_dual_fmamk_f32 v90, v52, 0x3df6dbef, v94
	v_add_f32_e32 v12, v12, v14
	v_fma_f32 v27, 0xbf3f9e67, v28, -v97
	v_mul_f32_e32 v24, 0x3eedf032, v61
	v_fma_f32 v16, 0x3df6dbef, v51, -v23
	v_fmac_f32_e32 v66, 0x3f116cb1, v45
	v_add_f32_e32 v8, v12, v8
	v_add_f32_e32 v25, v0, v27
	v_fma_f32 v27, 0x3df6dbef, v29, -v95
	v_mul_f32_e32 v96, 0x3e750f2a, v59
	v_add_f32_e32 v16, v16, v91
	v_add_f32_e32 v8, v8, v10
	;; [unrolled: 1-line block ×3, first 2 shown]
	s_delay_alu instid0(VALU_DEP_4) | instskip(SKIP_1) | instid1(VALU_DEP_4)
	v_dual_add_f32 v25, v27, v25 :: v_dual_fmamk_f32 v26, v48, 0xbf788fa5, v96
	v_fma_f32 v27, 0x3f116cb1, v30, -v22
	v_dual_add_f32 v4, v8, v4 :: v_dual_mul_f32 v91, 0xbf7e222b, v59
	s_delay_alu instid0(VALU_DEP_3) | instskip(NEXT) | instid1(VALU_DEP_3)
	v_dual_add_f32 v67, v67, v69 :: v_dual_add_f32 v26, v26, v92
	v_dual_fmamk_f32 v92, v50, 0x3f62ad3f, v24 :: v_dual_add_f32 v21, v27, v25
	v_dual_mul_f32 v20, 0xbf6f5d39, v64 :: v_dual_add_f32 v27, v17, v19
	v_fma_f32 v25, 0xbf788fa5, v45, -v98
	s_delay_alu instid0(VALU_DEP_3) | instskip(SKIP_1) | instid1(VALU_DEP_3)
	v_add_f32_e32 v19, v92, v26
	v_dual_mul_f32 v92, 0xbf6f5d39, v58 :: v_dual_add_f32 v17, v90, v89
	v_dual_fmamk_f32 v26, v52, 0xbeb58ec6, v20 :: v_dual_add_f32 v21, v25, v21
	v_fma_f32 v25, 0x3f62ad3f, v47, -v99
	v_dual_add_f32 v13, v27, v13 :: v_dual_mul_f32 v90, 0x3f29c268, v55
	s_delay_alu instid0(VALU_DEP_3) | instskip(NEXT) | instid1(VALU_DEP_3)
	v_dual_add_f32 v19, v26, v19 :: v_dual_mul_f32 v26, 0x3f29c268, v60
	v_add_f32_e32 v21, v25, v21
	v_fmamk_f32 v25, v49, 0xbeb58ec6, v92
	v_mul_f32_e32 v27, 0xbf6f5d39, v62
	v_dual_add_f32 v13, v13, v15 :: v_dual_add_f32 v4, v4, v6
	v_fma_f32 v6, 0x3df6dbef, v45, -v101
	s_delay_alu instid0(VALU_DEP_4) | instskip(NEXT) | instid1(VALU_DEP_4)
	v_dual_add_f32 v18, v1, v25 :: v_dual_fmamk_f32 v25, v31, 0xbf3f9e67, v26
	v_fma_f32 v14, 0xbeb58ec6, v51, -v27
	v_mul_f32_e32 v89, 0xbf6f5d39, v54
	v_mul_f32_e32 v58, 0xbeedf032, v58
	v_dual_mul_f32 v60, 0xbf52af12, v60 :: v_dual_mul_f32 v55, 0xbf52af12, v55
	v_add_f32_e32 v15, v25, v18
	v_dual_mul_f32 v25, 0x3eedf032, v63 :: v_dual_add_f32 v18, v14, v21
	v_fma_f32 v12, 0xbeb58ec6, v28, -v89
	v_mul_f32_e32 v14, 0xbeb58ec6, v31
	v_mul_f32_e32 v21, 0xbf788fa5, v30
	s_delay_alu instid0(VALU_DEP_4) | instskip(SKIP_2) | instid1(VALU_DEP_3)
	v_dual_fmamk_f32 v10, v46, 0x3f62ad3f, v25 :: v_dual_add_f32 v9, v13, v9
	v_mul_f32_e32 v63, 0xbf7e222b, v63
	v_fma_f32 v24, 0x3f62ad3f, v50, -v24
	v_dual_fmac_f32 v97, 0xbf3f9e67, v28 :: v_dual_add_f32 v10, v10, v15
	s_delay_alu instid0(VALU_DEP_4)
	v_add_f32_e32 v9, v9, v11
	v_add_f32_e32 v11, v0, v12
	v_fma_f32 v12, 0xbf3f9e67, v29, -v90
	v_dual_fmac_f32 v68, 0xbeb58ec6, v47 :: v_dual_fmac_f32 v89, 0xbeb58ec6, v28
	v_fma_f32 v20, 0xbeb58ec6, v52, -v20
	v_mul_f32_e32 v53, 0xbf6f5d39, v53
	s_delay_alu instid0(VALU_DEP_4)
	v_add_f32_e32 v11, v12, v11
	v_fma_f32 v12, 0x3f62ad3f, v30, -v100
	v_add_f32_e32 v5, v9, v5
	v_fmac_f32_e32 v95, 0x3df6dbef, v29
	v_fmac_f32_e32 v65, 0xbf3f9e67, v30
	;; [unrolled: 1-line block ×3, first 2 shown]
	v_add_f32_e32 v8, v12, v11
	v_fmamk_f32 v13, v48, 0x3df6dbef, v91
	v_fma_f32 v12, 0xbf788fa5, v29, -v110
	v_fmac_f32_e32 v110, 0xbf788fa5, v29
	s_delay_alu instid0(VALU_DEP_4) | instskip(SKIP_4) | instid1(VALU_DEP_4)
	v_dual_fmac_f32 v99, 0x3f62ad3f, v47 :: v_dual_add_f32 v6, v6, v8
	v_fma_f32 v8, 0xbf788fa5, v47, -v103
	v_add_f32_e32 v5, v5, v7
	v_add_f32_e32 v7, v13, v10
	v_fma_f32 v13, 0x3f116cb1, v51, -v106
	v_dual_fmac_f32 v27, 0xbeb58ec6, v51 :: v_dual_add_f32 v6, v8, v6
	v_fma_f32 v8, 0x3df6dbef, v28, -v108
	v_fmamk_f32 v11, v31, 0xbf788fa5, v107
	s_delay_alu instid0(VALU_DEP_3) | instskip(NEXT) | instid1(VALU_DEP_3)
	v_dual_fmac_f32 v101, 0x3df6dbef, v45 :: v_dual_add_f32 v6, v13, v6
	v_dual_add_f32 v8, v0, v8 :: v_dual_mul_f32 v111, 0x3eedf032, v59
	v_mul_f32_e32 v13, 0xbf788fa5, v46
	s_delay_alu instid0(VALU_DEP_2) | instskip(SKIP_4) | instid1(VALU_DEP_4)
	v_dual_mul_f32 v59, 0xbf6f5d39, v59 :: v_dual_add_f32 v8, v12, v8
	v_fma_f32 v12, 0xbeb58ec6, v30, -v112
	v_mul_f32_e32 v113, 0xbf52af12, v61
	v_mul_f32_e32 v61, 0xbf29c268, v61
	v_fmac_f32_e32 v112, 0xbeb58ec6, v30
	v_add_f32_e32 v8, v12, v8
	v_fma_f32 v12, 0x3f62ad3f, v45, -v114
	v_mul_f32_e32 v115, 0xbf52af12, v57
	v_mul_f32_e32 v57, 0xbf29c268, v57
	v_fmac_f32_e32 v90, 0xbf3f9e67, v29
	s_delay_alu instid0(VALU_DEP_4) | instskip(SKIP_2) | instid1(VALU_DEP_1)
	v_add_f32_e32 v8, v12, v8
	v_fmamk_f32 v12, v52, 0xbf3f9e67, v116
	v_fmamk_f32 v10, v49, 0x3df6dbef, v104
	v_dual_add_f32 v10, v1, v10 :: v_dual_fmamk_f32 v9, v50, 0xbf788fa5, v102
	v_dual_fmac_f32 v98, 0xbf788fa5, v45 :: v_dual_fmac_f32 v103, 0xbf788fa5, v47
	s_delay_alu instid0(VALU_DEP_2) | instskip(SKIP_1) | instid1(VALU_DEP_2)
	v_dual_add_f32 v10, v11, v10 :: v_dual_fmamk_f32 v11, v46, 0xbeb58ec6, v109
	v_mul_f32_e32 v105, 0x3f52af12, v64
	v_dual_add_f32 v7, v9, v7 :: v_dual_add_f32 v10, v11, v10
	v_fmamk_f32 v11, v48, 0x3f62ad3f, v111
	s_delay_alu instid0(VALU_DEP_1) | instskip(SKIP_1) | instid1(VALU_DEP_2)
	v_dual_fmamk_f32 v9, v52, 0x3f116cb1, v105 :: v_dual_add_f32 v10, v11, v10
	v_fmamk_f32 v11, v50, 0x3f116cb1, v113
	v_dual_add_f32 v7, v9, v7 :: v_dual_fmac_f32 v114, 0x3f62ad3f, v45
	v_fmac_f32_e32 v100, 0x3f62ad3f, v30
	s_delay_alu instid0(VALU_DEP_3) | instskip(SKIP_1) | instid1(VALU_DEP_2)
	v_dual_add_f32 v9, v11, v10 :: v_dual_mul_f32 v10, 0x3f116cb1, v49
	v_fma_f32 v11, 0x3f116cb1, v47, -v115
	v_dual_fmac_f32 v115, 0x3f116cb1, v47 :: v_dual_add_f32 v10, v85, v10
	s_delay_alu instid0(VALU_DEP_2) | instskip(SKIP_1) | instid1(VALU_DEP_3)
	v_dual_add_f32 v8, v11, v8 :: v_dual_add_f32 v11, v84, v14
	v_mul_f32_e32 v14, 0xbeb58ec6, v29
	v_add_f32_e32 v10, v1, v10
	s_delay_alu instid0(VALU_DEP_2) | instskip(NEXT) | instid1(VALU_DEP_2)
	v_sub_f32_e32 v14, v14, v78
	v_dual_add_f32 v10, v11, v10 :: v_dual_add_f32 v11, v81, v13
	v_dual_add_f32 v9, v12, v9 :: v_dual_mul_f32 v12, 0x3f116cb1, v28
	v_mul_f32_e32 v13, 0xbf3f9e67, v48
	v_mul_f32_e32 v84, 0xbf29c268, v62
	;; [unrolled: 1-line block ×3, first 2 shown]
	s_delay_alu instid0(VALU_DEP_4) | instskip(NEXT) | instid1(VALU_DEP_1)
	v_sub_f32_e32 v12, v12, v80
	v_add_f32_e32 v12, v0, v12
	s_delay_alu instid0(VALU_DEP_1)
	v_add_f32_e32 v12, v14, v12
	v_dual_sub_f32 v14, v21, v76 :: v_dual_mul_f32 v21, 0xbf3f9e67, v45
	v_dual_add_f32 v10, v11, v10 :: v_dual_add_f32 v11, v82, v13
	v_mul_f32_e32 v13, 0x3df6dbef, v50
	v_fma_f32 v15, 0xbf3f9e67, v51, -v84
	v_fmac_f32_e32 v84, 0xbf3f9e67, v51
	s_delay_alu instid0(VALU_DEP_4) | instskip(NEXT) | instid1(VALU_DEP_4)
	v_add_f32_e32 v10, v11, v10
	v_add_f32_e32 v11, v83, v13
	v_sub_f32_e32 v13, v21, v75
	v_fma_f32 v21, 0xbf788fa5, v49, -v86
	s_delay_alu instid0(VALU_DEP_3) | instskip(NEXT) | instid1(VALU_DEP_1)
	v_dual_add_f32 v10, v11, v10 :: v_dual_mul_f32 v11, 0x3f62ad3f, v52
	v_dual_add_f32 v11, v79, v11 :: v_dual_add_f32 v12, v14, v12
	v_mul_f32_e32 v14, 0x3df6dbef, v47
	v_dual_add_f32 v8, v15, v8 :: v_dual_mul_f32 v15, 0x3f62ad3f, v51
	s_delay_alu instid0(VALU_DEP_3) | instskip(NEXT) | instid1(VALU_DEP_2)
	v_dual_add_f32 v11, v11, v10 :: v_dual_add_f32 v12, v13, v12
	v_sub_f32_e32 v15, v15, v77
	s_delay_alu instid0(VALU_DEP_4) | instskip(NEXT) | instid1(VALU_DEP_1)
	v_dual_sub_f32 v13, v14, v74 :: v_dual_fmamk_f32 v14, v49, 0x3f62ad3f, v58
	v_add_f32_e32 v12, v13, v12
	s_delay_alu instid0(VALU_DEP_2) | instskip(NEXT) | instid1(VALU_DEP_2)
	v_dual_add_f32 v13, v1, v14 :: v_dual_fmamk_f32 v14, v31, 0x3f116cb1, v60
	v_add_f32_e32 v10, v15, v12
	v_fma_f32 v15, 0x3f116cb1, v29, -v55
	s_delay_alu instid0(VALU_DEP_3) | instskip(SKIP_3) | instid1(VALU_DEP_3)
	v_add_f32_e32 v13, v14, v13
	v_fmamk_f32 v14, v46, 0x3df6dbef, v63
	v_mul_f32_e32 v54, 0xbeedf032, v54
	v_fmac_f32_e32 v55, 0x3f116cb1, v29
	v_add_f32_e32 v13, v14, v13
	s_delay_alu instid0(VALU_DEP_3) | instskip(SKIP_1) | instid1(VALU_DEP_2)
	v_fma_f32 v12, 0x3f62ad3f, v28, -v54
	v_fmac_f32_e32 v54, 0x3f62ad3f, v28
	v_add_f32_e32 v12, v0, v12
	s_delay_alu instid0(VALU_DEP_1) | instskip(SKIP_1) | instid1(VALU_DEP_1)
	v_add_f32_e32 v12, v15, v12
	v_fma_f32 v15, 0x3df6dbef, v30, -v56
	v_add_f32_e32 v12, v15, v12
	v_fma_f32 v15, 0xbeb58ec6, v45, -v53
	s_delay_alu instid0(VALU_DEP_1) | instskip(SKIP_1) | instid1(VALU_DEP_1)
	v_dual_fmac_f32 v53, 0xbeb58ec6, v45 :: v_dual_add_f32 v12, v15, v12
	v_fma_f32 v15, 0xbf3f9e67, v47, -v57
	v_dual_fmac_f32 v57, 0xbf3f9e67, v47 :: v_dual_add_f32 v12, v15, v12
	v_fma_f32 v15, 0xbf788fa5, v51, -v62
	s_delay_alu instid0(VALU_DEP_1) | instskip(SKIP_1) | instid1(VALU_DEP_1)
	v_add_f32_e32 v12, v15, v12
	v_fma_f32 v15, 0xbf3f9e67, v49, -v88
	v_dual_fmamk_f32 v14, v48, 0xbeb58ec6, v59 :: v_dual_add_f32 v69, v1, v15
	s_delay_alu instid0(VALU_DEP_1) | instskip(SKIP_1) | instid1(VALU_DEP_1)
	v_add_f32_e32 v13, v14, v13
	v_fmamk_f32 v14, v50, 0xbf3f9e67, v61
	v_add_f32_e32 v13, v14, v13
	v_add_f32_e32 v14, v1, v21
	v_fma_f32 v21, 0x3f62ad3f, v31, -v87
	v_fmac_f32_e32 v56, 0x3df6dbef, v30
	s_delay_alu instid0(VALU_DEP_2) | instskip(SKIP_1) | instid1(VALU_DEP_1)
	v_add_f32_e32 v14, v21, v14
	v_fma_f32 v21, 0xbf3f9e67, v46, -v72
	v_add_f32_e32 v14, v21, v14
	v_fma_f32 v21, 0x3f116cb1, v48, -v71
	s_delay_alu instid0(VALU_DEP_1) | instskip(SKIP_2) | instid1(VALU_DEP_2)
	v_add_f32_e32 v14, v21, v14
	v_fma_f32 v21, 0xbeb58ec6, v50, -v70
	v_fma_f32 v70, 0x3df6dbef, v31, -v93
	v_add_f32_e32 v14, v21, v14
	v_fma_f32 v21, 0x3df6dbef, v52, -v94
	s_delay_alu instid0(VALU_DEP_1) | instskip(NEXT) | instid1(VALU_DEP_4)
	v_dual_mul_f32 v64, 0xbe750f2a, v64 :: v_dual_add_f32 v15, v21, v14
	v_dual_add_f32 v14, v65, v67 :: v_dual_add_f32 v21, v70, v69
	v_fma_f32 v65, 0x3f116cb1, v46, -v73
	v_add_f32_e32 v67, v0, v97
	s_delay_alu instid0(VALU_DEP_4)
	v_fma_f32 v29, 0xbf788fa5, v52, -v64
	v_fmac_f32_e32 v108, 0x3df6dbef, v28
	v_mul_u32_u24_e32 v28, 0x68, v34
	v_add_f32_e32 v21, v65, v21
	v_fma_f32 v65, 0xbf788fa5, v48, -v96
	v_fmamk_f32 v72, v52, 0xbf788fa5, v64
	v_fmac_f32_e32 v62, 0xbf788fa5, v51
	v_add3_u32 v28, 0, v28, v43
	s_delay_alu instid0(VALU_DEP_4) | instskip(NEXT) | instid1(VALU_DEP_4)
	v_add_f32_e32 v21, v65, v21
	v_add_f32_e32 v13, v72, v13
	s_delay_alu instid0(VALU_DEP_2) | instskip(SKIP_3) | instid1(VALU_DEP_4)
	v_dual_add_f32 v21, v24, v21 :: v_dual_add_f32 v14, v66, v14
	v_add_f32_e32 v66, v95, v67
	v_fma_f32 v24, 0xbf3f9e67, v31, -v26
	v_fma_f32 v26, 0xbf788fa5, v31, -v107
	v_dual_fmac_f32 v22, 0x3f116cb1, v30 :: v_dual_add_f32 v21, v20, v21
	v_add_f32_e32 v14, v68, v14
	s_delay_alu instid0(VALU_DEP_2) | instskip(NEXT) | instid1(VALU_DEP_2)
	v_add_f32_e32 v22, v22, v66
	v_add_f32_e32 v14, v23, v14
	v_fma_f32 v23, 0xbeb58ec6, v49, -v92
	s_delay_alu instid0(VALU_DEP_1) | instskip(NEXT) | instid1(VALU_DEP_1)
	v_dual_add_f32 v22, v98, v22 :: v_dual_add_f32 v23, v1, v23
	v_add_f32_e32 v20, v99, v22
	s_delay_alu instid0(VALU_DEP_2) | instskip(SKIP_2) | instid1(VALU_DEP_2)
	v_add_f32_e32 v22, v24, v23
	v_fma_f32 v23, 0x3f62ad3f, v46, -v25
	v_fma_f32 v25, 0x3df6dbef, v49, -v104
	v_add_f32_e32 v22, v23, v22
	v_fma_f32 v23, 0x3df6dbef, v48, -v91
	s_delay_alu instid0(VALU_DEP_1) | instskip(SKIP_1) | instid1(VALU_DEP_2)
	v_dual_add_f32 v25, v1, v25 :: v_dual_add_f32 v22, v23, v22
	v_fma_f32 v23, 0xbf788fa5, v50, -v102
	v_add_f32_e32 v25, v26, v25
	v_fma_f32 v26, 0xbeb58ec6, v46, -v109
	s_delay_alu instid0(VALU_DEP_3) | instskip(SKIP_2) | instid1(VALU_DEP_4)
	v_add_f32_e32 v22, v23, v22
	v_fma_f32 v23, 0x3f116cb1, v52, -v105
	v_add_f32_e32 v24, v0, v89
	v_add_f32_e32 v25, v26, v25
	v_fma_f32 v26, 0x3f62ad3f, v48, -v111
	s_delay_alu instid0(VALU_DEP_3) | instskip(NEXT) | instid1(VALU_DEP_1)
	v_dual_add_f32 v23, v23, v22 :: v_dual_add_f32 v24, v90, v24
	v_add_f32_e32 v24, v100, v24
	s_delay_alu instid0(VALU_DEP_1) | instskip(NEXT) | instid1(VALU_DEP_1)
	v_add_f32_e32 v24, v101, v24
	v_add_f32_e32 v22, v103, v24
	;; [unrolled: 1-line block ×3, first 2 shown]
	v_fma_f32 v25, 0x3f116cb1, v50, -v113
	v_add_f32_e32 v26, v0, v108
	v_add_f32_e32 v0, v0, v54
	s_delay_alu instid0(VALU_DEP_2) | instskip(SKIP_3) | instid1(VALU_DEP_4)
	v_dual_add_f32 v24, v25, v24 :: v_dual_add_f32 v25, v110, v26
	v_add_f32_e32 v20, v27, v20
	v_fma_f32 v27, 0x3f62ad3f, v49, -v58
	v_fma_f32 v26, 0x3f116cb1, v31, -v60
	v_dual_add_f32 v0, v55, v0 :: v_dual_add_f32 v25, v112, v25
	s_delay_alu instid0(VALU_DEP_3) | instskip(SKIP_1) | instid1(VALU_DEP_3)
	v_add_f32_e32 v1, v1, v27
	v_fma_f32 v27, 0xbf3f9e67, v52, -v116
	v_dual_add_f32 v0, v56, v0 :: v_dual_add_f32 v25, v114, v25
	s_delay_alu instid0(VALU_DEP_3) | instskip(SKIP_1) | instid1(VALU_DEP_3)
	v_dual_fmac_f32 v106, 0x3f116cb1, v51 :: v_dual_add_f32 v1, v26, v1
	v_fma_f32 v26, 0x3df6dbef, v46, -v63
	v_dual_add_f32 v0, v53, v0 :: v_dual_add_f32 v25, v115, v25
	s_delay_alu instid0(VALU_DEP_2) | instskip(SKIP_1) | instid1(VALU_DEP_3)
	v_add_f32_e32 v1, v26, v1
	v_fma_f32 v26, 0xbeb58ec6, v48, -v59
	v_add_f32_e32 v30, v57, v0
	s_delay_alu instid0(VALU_DEP_4) | instskip(NEXT) | instid1(VALU_DEP_3)
	v_add_f32_e32 v0, v84, v25
	v_add_f32_e32 v1, v26, v1
	v_fma_f32 v26, 0xbf3f9e67, v50, -v61
	s_delay_alu instid0(VALU_DEP_1) | instskip(SKIP_2) | instid1(VALU_DEP_3)
	v_dual_add_f32 v26, v26, v1 :: v_dual_add_f32 v1, v27, v24
	v_add_f32_e32 v22, v106, v22
	v_add_f32_e32 v24, v62, v30
	;; [unrolled: 1-line block ×3, first 2 shown]
	ds_store_2addr_b64 v28, v[4:5], v[12:13] offset1:1
	ds_store_2addr_b64 v28, v[10:11], v[8:9] offset0:2 offset1:3
	ds_store_2addr_b64 v28, v[6:7], v[18:19] offset0:4 offset1:5
	;; [unrolled: 1-line block ×5, first 2 shown]
	ds_store_b64 v28, v[24:25] offset:96
.LBB0_14:
	s_wait_alu 0xfffe
	s_or_b32 exec_lo, exec_lo, s1
	v_and_b32_e32 v0, 0xff, v34
	s_load_b64 s[2:3], s[2:3], 0x0
	global_wb scope:SCOPE_SE
	s_wait_dscnt 0x0
	s_wait_kmcnt 0x0
	s_barrier_signal -1
	s_barrier_wait -1
	v_mul_lo_u16 v0, 0x4f, v0
	global_inv scope:SCOPE_SE
	v_cmp_gt_u32_e64 s0, 0x41, v34
	v_lshrrev_b16 v0, 10, v0
	s_delay_alu instid0(VALU_DEP_1) | instskip(NEXT) | instid1(VALU_DEP_1)
	v_mul_lo_u16 v1, v0, 13
	v_sub_nc_u16 v1, v34, v1
	s_delay_alu instid0(VALU_DEP_1) | instskip(NEXT) | instid1(VALU_DEP_1)
	v_and_b32_e32 v1, 0xff, v1
	v_mul_u32_u24_e32 v4, 10, v1
	s_delay_alu instid0(VALU_DEP_1)
	v_lshlrev_b32_e32 v20, 3, v4
	s_clause 0x4
	global_load_b128 v[16:19], v20, s[8:9]
	global_load_b128 v[12:15], v20, s[8:9] offset:16
	global_load_b128 v[8:11], v20, s[8:9] offset:32
	;; [unrolled: 1-line block ×4, first 2 shown]
	ds_load_2addr_b64 v[28:31], v40 offset0:78 offset1:156
	ds_load_2addr_b64 v[24:27], v41 offset0:106 offset1:184
	ds_load_2addr_b32 v[53:54], v42 offset0:12 offset1:13
	ds_load_2addr_b64 v[45:48], v42 offset0:84 offset1:162
	v_and_b32_e32 v0, 0xffff, v0
	v_lshlrev_b32_e32 v58, 3, v1
	s_delay_alu instid0(VALU_DEP_2)
	v_mad_u32_u24 v57, 0x478, v0, 0
	ds_load_2addr_b64 v[49:52], v44 offset0:112 offset1:190
	ds_load_b64 v[0:1], v39
	ds_load_b64 v[55:56], v40 offset:6240
	global_wb scope:SCOPE_SE
	s_wait_loadcnt_dscnt 0x0
	s_barrier_signal -1
	s_barrier_wait -1
	v_add3_u32 v43, v57, v58, v43
	global_inv scope:SCOPE_SE
	v_dual_mul_f32 v44, v17, v29 :: v_dual_mul_f32 v59, v15, v27
	v_mul_f32_e32 v17, v17, v28
	v_mul_f32_e32 v57, v19, v31
	v_dual_mul_f32 v19, v19, v30 :: v_dual_mul_f32 v58, v13, v25
	v_mul_f32_e32 v15, v15, v26
	v_dual_mul_f32 v13, v13, v24 :: v_dual_mul_f32 v60, v54, v9
	v_dual_mul_f32 v61, v46, v11 :: v_dual_mul_f32 v62, v48, v5
	v_mul_f32_e32 v11, v45, v11
	v_fma_f32 v28, v16, v28, -v44
	v_fmac_f32_e32 v15, v14, v27
	v_fmac_f32_e32 v19, v18, v31
	v_dual_mul_f32 v63, v50, v7 :: v_dual_mul_f32 v64, v52, v21
	v_fmac_f32_e32 v11, v46, v10
	v_fmac_f32_e32 v13, v12, v25
	;; [unrolled: 1-line block ×3, first 2 shown]
	v_fma_f32 v16, v18, v30, -v57
	v_fma_f32 v18, v12, v24, -v58
	;; [unrolled: 1-line block ×4, first 2 shown]
	v_mul_f32_e32 v9, v9, v53
	v_fma_f32 v24, v51, v20, -v64
	s_delay_alu instid0(VALU_DEP_2) | instskip(NEXT) | instid1(VALU_DEP_2)
	v_fmac_f32_e32 v9, v54, v8
	v_sub_f32_e32 v29, v16, v24
	v_fma_f32 v8, v45, v10, -v61
	v_fma_f32 v10, v47, v4, -v62
	s_delay_alu instid0(VALU_DEP_4) | instskip(SKIP_2) | instid1(VALU_DEP_2)
	v_dual_add_f32 v54, v9, v11 :: v_dual_mul_f32 v65, v51, v21
	v_mul_f32_e32 v21, v56, v23
	v_dual_mul_f32 v23, v55, v23 :: v_dual_mul_f32 v62, 0xbf68dda4, v29
	v_fma_f32 v25, v55, v22, -v21
	v_mul_f32_e32 v7, v49, v7
	s_delay_alu instid0(VALU_DEP_3) | instskip(NEXT) | instid1(VALU_DEP_2)
	v_fmac_f32_e32 v23, v56, v22
	v_dual_sub_f32 v26, v28, v25 :: v_dual_fmac_f32 v7, v50, v6
	v_add_f32_e32 v21, v28, v25
	s_delay_alu instid0(VALU_DEP_2) | instskip(NEXT) | instid1(VALU_DEP_3)
	v_dual_add_f32 v27, v16, v24 :: v_dual_mul_f32 v56, 0xbf68dda4, v26
	v_dual_sub_f32 v46, v13, v7 :: v_dual_mul_f32 v5, v47, v5
	v_add_f32_e32 v22, v17, v23
	v_dual_add_f32 v44, v13, v7 :: v_dual_fmac_f32 v65, v52, v20
	s_delay_alu instid0(VALU_DEP_3) | instskip(SKIP_3) | instid1(VALU_DEP_4)
	v_dual_add_f32 v20, v17, v1 :: v_dual_fmac_f32 v5, v48, v4
	v_fma_f32 v4, v49, v6, -v63
	v_dual_add_f32 v6, v28, v0 :: v_dual_sub_f32 v17, v17, v23
	v_mul_f32_e32 v60, 0xbf4178ce, v26
	v_add_f32_e32 v48, v15, v5
	v_add_f32_e32 v28, v19, v65
	v_sub_f32_e32 v30, v19, v65
	v_add_f32_e32 v6, v6, v16
	v_dual_add_f32 v16, v20, v19 :: v_dual_mul_f32 v19, 0xbf0a6770, v17
	v_dual_mul_f32 v76, 0xbf0a6770, v46 :: v_dual_sub_f32 v45, v18, v4
	s_delay_alu instid0(VALU_DEP_4) | instskip(SKIP_1) | instid1(VALU_DEP_4)
	v_mul_f32_e32 v68, 0x3f7d64f0, v30
	v_mul_f32_e32 v20, 0xbf0a6770, v26
	v_dual_mul_f32 v58, 0xbf7d64f0, v26 :: v_dual_add_f32 v13, v16, v13
	v_fma_f32 v16, 0x3f575c64, v21, -v19
	v_mul_f32_e32 v57, 0xbf7d64f0, v17
	v_sub_f32_e32 v50, v15, v5
	v_dual_mul_f32 v55, 0xbf68dda4, v17 :: v_dual_add_f32 v6, v6, v18
	v_mul_f32_e32 v59, 0xbf4178ce, v17
	s_delay_alu instid0(VALU_DEP_3)
	v_dual_mul_f32 v17, 0xbe903f40, v17 :: v_dual_mul_f32 v84, 0xbe903f40, v50
	v_mul_f32_e32 v26, 0xbe903f40, v26
	v_dual_mul_f32 v66, 0x3e903f40, v30 :: v_dual_add_f32 v31, v18, v4
	v_mul_f32_e32 v64, 0xbf4178ce, v29
	v_dual_mul_f32 v67, 0x3e903f40, v29 :: v_dual_mul_f32 v72, 0x3e903f40, v46
	v_dual_mul_f32 v74, 0x3f68dda4, v46 :: v_dual_mul_f32 v75, 0x3f68dda4, v45
	v_fmamk_f32 v18, v22, 0x3f575c64, v20
	v_fmamk_f32 v99, v22, 0xbf27a4f4, v60
	v_fma_f32 v60, 0xbf27a4f4, v22, -v60
	v_add_f32_e32 v16, v16, v0
	v_fma_f32 v96, 0xbe11bafb, v21, -v57
	v_fmac_f32_e32 v57, 0xbe11bafb, v21
	v_sub_f32_e32 v51, v9, v11
	v_dual_sub_f32 v53, v14, v8 :: v_dual_mul_f32 v70, 0xbf7d64f0, v46
	v_dual_mul_f32 v61, 0xbf68dda4, v30 :: v_dual_add_f32 v18, v18, v1
	s_delay_alu instid0(VALU_DEP_2)
	v_dual_mul_f32 v63, 0xbf4178ce, v30 :: v_dual_mul_f32 v92, 0xbf4178ce, v53
	v_mul_f32_e32 v30, 0x3f0a6770, v30
	v_dual_sub_f32 v49, v12, v10 :: v_dual_mul_f32 v88, 0xbf4178ce, v51
	v_dual_mul_f32 v71, 0xbf7d64f0, v45 :: v_dual_add_f32 v6, v6, v12
	v_mul_f32_e32 v46, 0xbf4178ce, v46
	v_fmac_f32_e32 v19, 0x3f575c64, v21
	v_fma_f32 v20, 0x3f575c64, v22, -v20
	v_fma_f32 v94, 0x3ed4b147, v21, -v55
	v_fmac_f32_e32 v55, 0x3ed4b147, v21
	v_fma_f32 v98, 0xbf27a4f4, v21, -v59
	v_fmac_f32_e32 v59, 0xbf27a4f4, v21
	v_fma_f32 v100, 0xbf75a155, v21, -v17
	v_fmac_f32_e32 v17, 0xbf75a155, v21
	v_fma_f32 v21, 0xbf75a155, v22, -v26
	v_fma_f32 v104, 0xbf75a155, v27, -v66
	v_dual_fmac_f32 v66, 0xbf75a155, v27 :: v_dual_fmamk_f32 v105, v28, 0xbf75a155, v67
	v_fma_f32 v106, 0xbe11bafb, v27, -v68
	v_fmac_f32_e32 v68, 0xbe11bafb, v27
	v_fma_f32 v110, 0xbf75a155, v31, -v72
	v_fmac_f32_e32 v72, 0xbf75a155, v31
	v_fmamk_f32 v101, v22, 0xbf75a155, v26
	v_fmamk_f32 v26, v28, 0x3ed4b147, v62
	;; [unrolled: 1-line block ×3, first 2 shown]
	v_fma_f32 v75, 0x3ed4b147, v44, -v75
	v_dual_add_f32 v57, v57, v0 :: v_dual_add_f32 v60, v60, v1
	v_fmamk_f32 v97, v22, 0xbe11bafb, v58
	v_fmamk_f32 v95, v22, 0x3ed4b147, v56
	v_fma_f32 v56, 0x3ed4b147, v22, -v56
	v_dual_add_f32 v47, v12, v10 :: v_dual_mul_f32 v86, 0xbe903f40, v51
	v_dual_add_f32 v52, v14, v8 :: v_dual_mul_f32 v69, 0x3f7d64f0, v29
	v_mul_f32_e32 v80, 0x3f7d64f0, v50
	v_mul_f32_e32 v29, 0x3f0a6770, v29
	v_dual_mul_f32 v73, 0x3e903f40, v45 :: v_dual_add_f32 v12, v13, v15
	v_dual_mul_f32 v77, 0xbf0a6770, v45 :: v_dual_mul_f32 v82, 0xbf0a6770, v50
	v_dual_mul_f32 v45, 0xbf4178ce, v45 :: v_dual_mul_f32 v78, 0xbf4178ce, v50
	v_mul_f32_e32 v79, 0xbf4178ce, v49
	v_dual_mul_f32 v81, 0x3f7d64f0, v49 :: v_dual_add_f32 v6, v6, v14
	v_dual_mul_f32 v85, 0xbe903f40, v49 :: v_dual_add_f32 v14, v26, v18
	v_mul_f32_e32 v50, 0x3f68dda4, v50
	v_dual_mul_f32 v87, 0x3f0a6770, v51 :: v_dual_add_f32 v20, v20, v1
	v_mul_f32_e32 v89, 0x3f68dda4, v51
	v_dual_mul_f32 v51, 0xbf7d64f0, v51 :: v_dual_add_f32 v56, v56, v1
	v_fma_f32 v58, 0xbe11bafb, v22, -v58
	v_fma_f32 v22, 0x3ed4b147, v27, -v61
	v_mul_f32_e32 v83, 0xbf0a6770, v49
	v_mul_f32_e32 v49, 0x3f68dda4, v49
	s_delay_alu instid0(VALU_DEP_4)
	v_dual_fmac_f32 v61, 0x3ed4b147, v27 :: v_dual_add_f32 v58, v58, v1
	v_fma_f32 v62, 0x3ed4b147, v28, -v62
	v_mul_f32_e32 v91, 0x3f0a6770, v53
	v_dual_fmamk_f32 v103, v28, 0xbf27a4f4, v64 :: v_dual_add_f32 v26, v66, v57
	v_mul_f32_e32 v93, 0x3f68dda4, v53
	v_fma_f32 v64, 0xbf27a4f4, v28, -v64
	v_fma_f32 v108, 0x3f575c64, v27, -v30
	v_fmac_f32_e32 v30, 0x3f575c64, v27
	v_dual_mul_f32 v90, 0xbe903f40, v53 :: v_dual_add_f32 v19, v19, v0
	v_mul_f32_e32 v53, 0xbf7d64f0, v53
	v_fma_f32 v102, 0xbf27a4f4, v27, -v63
	v_fmac_f32_e32 v63, 0xbf27a4f4, v27
	v_fma_f32 v67, 0xbf75a155, v28, -v67
	v_fmamk_f32 v107, v28, 0xbe11bafb, v69
	v_fma_f32 v69, 0xbe11bafb, v28, -v69
	v_fmamk_f32 v109, v28, 0x3f575c64, v29
	v_fma_f32 v27, 0x3f575c64, v28, -v29
	v_fma_f32 v28, 0xbe11bafb, v31, -v70
	v_dual_fmamk_f32 v29, v44, 0xbe11bafb, v71 :: v_dual_fmac_f32 v70, 0xbe11bafb, v31
	v_fma_f32 v71, 0xbe11bafb, v44, -v71
	v_fmamk_f32 v111, v44, 0xbf75a155, v73
	v_fma_f32 v73, 0xbf75a155, v44, -v73
	v_fma_f32 v112, 0x3ed4b147, v31, -v74
	v_fmac_f32_e32 v74, 0x3ed4b147, v31
	v_fma_f32 v114, 0x3f575c64, v31, -v76
	v_dual_fmamk_f32 v115, v44, 0x3f575c64, v77 :: v_dual_fmac_f32 v76, 0x3f575c64, v31
	v_fma_f32 v77, 0x3f575c64, v44, -v77
	v_fma_f32 v116, 0xbf27a4f4, v31, -v46
	v_dual_fmamk_f32 v117, v44, 0xbf27a4f4, v45 :: v_dual_fmac_f32 v46, 0xbf27a4f4, v31
	v_fma_f32 v31, 0xbf27a4f4, v44, -v45
	v_fma_f32 v44, 0xbf27a4f4, v47, -v78
	v_dual_fmac_f32 v78, 0xbf27a4f4, v47 :: v_dual_fmamk_f32 v45, v48, 0xbf27a4f4, v79
	v_fmamk_f32 v130, v54, 0xbf27a4f4, v92
	v_fma_f32 v79, 0xbf27a4f4, v48, -v79
	v_fma_f32 v118, 0xbe11bafb, v47, -v80
	v_dual_fmamk_f32 v119, v48, 0xbe11bafb, v81 :: v_dual_fmac_f32 v80, 0xbe11bafb, v47
	v_fma_f32 v81, 0xbe11bafb, v48, -v81
	v_fma_f32 v120, 0x3f575c64, v47, -v82
	v_fmac_f32_e32 v82, 0x3f575c64, v47
	v_fma_f32 v122, 0xbf75a155, v47, -v84
	v_dual_fmamk_f32 v123, v48, 0xbf75a155, v85 :: v_dual_fmac_f32 v84, 0xbf75a155, v47
	v_fma_f32 v85, 0xbf75a155, v48, -v85
	v_fma_f32 v124, 0x3ed4b147, v47, -v50
	v_dual_fmac_f32 v50, 0x3ed4b147, v47 :: v_dual_fmamk_f32 v47, v48, 0x3ed4b147, v49
	v_fma_f32 v125, 0x3f575c64, v52, -v87
	v_fma_f32 v126, 0xbf27a4f4, v52, -v88
	v_fmac_f32_e32 v88, 0xbf27a4f4, v52
	v_fma_f32 v127, 0x3ed4b147, v52, -v89
	v_fma_f32 v128, 0xbe11bafb, v52, -v51
	v_fmac_f32_e32 v51, 0xbe11bafb, v52
	v_fma_f32 v92, 0xbf27a4f4, v54, -v92
	v_dual_add_f32 v9, v12, v9 :: v_dual_add_f32 v6, v6, v8
	v_fmac_f32_e32 v87, 0x3f575c64, v52
	v_dual_add_f32 v12, v22, v16 :: v_dual_fmamk_f32 v121, v48, 0x3f575c64, v83
	v_fma_f32 v83, 0x3f575c64, v48, -v83
	v_fma_f32 v48, 0x3ed4b147, v48, -v49
	;; [unrolled: 1-line block ×3, first 2 shown]
	v_dual_fmac_f32 v86, 0xbf75a155, v52 :: v_dual_add_f32 v15, v61, v19
	v_fmac_f32_e32 v89, 0x3ed4b147, v52
	v_dual_fmamk_f32 v52, v54, 0xbf75a155, v90 :: v_dual_add_f32 v55, v55, v0
	v_fma_f32 v90, 0xbf75a155, v54, -v90
	v_add_f32_e32 v16, v62, v20
	v_fmamk_f32 v129, v54, 0x3f575c64, v91
	v_fma_f32 v91, 0x3f575c64, v54, -v91
	v_fmamk_f32 v131, v54, 0x3ed4b147, v93
	v_fma_f32 v93, 0x3ed4b147, v54, -v93
	v_add_f32_e32 v20, v64, v56
	v_fmamk_f32 v132, v54, 0xbe11bafb, v53
	v_fma_f32 v53, 0xbe11bafb, v54, -v53
	v_add_f32_e32 v54, v94, v0
	v_dual_add_f32 v94, v95, v1 :: v_dual_add_f32 v95, v96, v0
	v_dual_add_f32 v96, v97, v1 :: v_dual_add_f32 v19, v63, v55
	v_add_f32_e32 v8, v9, v11
	s_delay_alu instid0(VALU_DEP_3) | instskip(SKIP_1) | instid1(VALU_DEP_4)
	v_add_f32_e32 v18, v103, v94
	v_add_f32_e32 v11, v29, v14
	;; [unrolled: 1-line block ×3, first 2 shown]
	v_dual_add_f32 v97, v98, v0 :: v_dual_add_f32 v98, v99, v1
	v_dual_add_f32 v99, v100, v0 :: v_dual_add_f32 v6, v6, v10
	v_add_f32_e32 v14, v71, v16
	v_add_f32_e32 v16, v111, v18
	;; [unrolled: 1-line block ×3, first 2 shown]
	v_dual_add_f32 v20, v113, v22 :: v_dual_add_f32 v55, v106, v97
	v_add_f32_e32 v59, v59, v0
	v_add_f32_e32 v0, v17, v0
	v_add_f32_e32 v13, v101, v1
	v_add_f32_e32 v1, v21, v1
	v_add_f32_e32 v9, v28, v12
	v_add_f32_e32 v17, v102, v54
	v_add_f32_e32 v54, v67, v58
	v_add_f32_e32 v58, v69, v60
	v_dual_add_f32 v0, v30, v0 :: v_dual_add_f32 v21, v104, v95
	v_dual_add_f32 v12, v70, v15 :: v_dual_add_f32 v5, v8, v5
	s_delay_alu instid0(VALU_DEP_2)
	v_dual_add_f32 v29, v77, v58 :: v_dual_add_f32 v0, v46, v0
	v_add_f32_e32 v8, v44, v9
	v_add_f32_e32 v15, v110, v17
	;; [unrolled: 1-line block ×4, first 2 shown]
	v_dual_add_f32 v19, v112, v21 :: v_dual_add_f32 v4, v6, v4
	v_add_f32_e32 v9, v45, v11
	v_dual_add_f32 v11, v79, v14 :: v_dual_add_f32 v14, v118, v15
	v_add_f32_e32 v13, v117, v13
	v_add_f32_e32 v21, v74, v26
	v_dual_add_f32 v15, v119, v16 :: v_dual_add_f32 v16, v80, v17
	v_dual_add_f32 v17, v81, v18 :: v_dual_add_f32 v18, v120, v19
	v_add_f32_e32 v26, v114, v55
	v_dual_add_f32 v57, v68, v59 :: v_dual_add_f32 v10, v78, v12
	v_dual_add_f32 v59, v108, v99 :: v_dual_add_f32 v56, v107, v98
	;; [unrolled: 1-line block ×3, first 2 shown]
	v_add_f32_e32 v20, v82, v21
	s_delay_alu instid0(VALU_DEP_3) | instskip(NEXT) | instid1(VALU_DEP_3)
	v_dual_add_f32 v30, v116, v59 :: v_dual_add_f32 v1, v27, v1
	v_dual_add_f32 v28, v76, v57 :: v_dual_add_f32 v21, v83, v22
	v_add_f32_e32 v22, v122, v26
	s_delay_alu instid0(VALU_DEP_3)
	v_dual_add_f32 v14, v125, v14 :: v_dual_add_f32 v1, v31, v1
	v_add_f32_e32 v27, v115, v56
	v_add_f32_e32 v31, v50, v0
	;; [unrolled: 1-line block ×5, first 2 shown]
	v_dual_add_f32 v26, v123, v27 :: v_dual_add_f32 v27, v84, v28
	v_add_f32_e32 v28, v85, v29
	v_dual_add_f32 v16, v126, v18 :: v_dual_add_f32 v5, v5, v7
	v_add_f32_e32 v18, v127, v22
	v_add_f32_e32 v22, v4, v24
	v_dual_add_f32 v4, v51, v31 :: v_dual_add_f32 v29, v124, v30
	v_add_f32_e32 v30, v47, v13
	v_add_f32_e32 v12, v49, v8
	;; [unrolled: 1-line block ×6, first 2 shown]
	v_dual_add_f32 v17, v130, v19 :: v_dual_add_f32 v20, v128, v29
	v_add_f32_e32 v15, v129, v15
	v_add_f32_e32 v24, v5, v65
	;; [unrolled: 1-line block ×8, first 2 shown]
	ds_store_2addr_b64 v43, v[14:15], v[16:17] offset0:26 offset1:39
	v_dual_add_f32 v14, v22, v25 :: v_dual_add_f32 v15, v24, v23
	ds_store_2addr_b64 v43, v[18:19], v[20:21] offset0:52 offset1:65
	ds_store_2addr_b64 v43, v[4:5], v[6:7] offset0:78 offset1:91
	;; [unrolled: 1-line block ×3, first 2 shown]
	ds_store_b64 v43, v[0:1] offset:1040
	ds_store_2addr_b64 v43, v[14:15], v[12:13] offset1:13
	global_wb scope:SCOPE_SE
	s_wait_dscnt 0x0
	s_barrier_signal -1
	s_barrier_wait -1
	global_inv scope:SCOPE_SE
	ds_load_2addr_b64 v[16:19], v41 offset0:15 offset1:158
	ds_load_2addr_b64 v[12:15], v42 offset0:45 offset1:188
	ds_load_b64 v[20:21], v39
	ds_load_b64 v[22:23], v40 offset:5720
	s_and_saveexec_b32 s1, s0
	s_cbranch_execz .LBB0_16
; %bb.15:
	v_add_nc_u32_e32 v0, 0x800, v40
	v_add_nc_u32_e32 v1, 0x1400, v40
	ds_load_2addr_b64 v[4:7], v40 offset0:78 offset1:221
	ds_load_2addr_b64 v[8:11], v0 offset0:108 offset1:251
	ds_load_2addr_b64 v[0:3], v1 offset0:10 offset1:153
.LBB0_16:
	s_wait_alu 0xfffe
	s_or_b32 exec_lo, exec_lo, s1
	v_mul_u32_u24_e32 v24, 5, v34
	s_delay_alu instid0(VALU_DEP_1)
	v_lshlrev_b32_e32 v24, 3, v24
	s_clause 0x2
	global_load_b128 v[25:28], v24, s[8:9] offset:1040
	global_load_b128 v[41:44], v24, s[8:9] offset:1056
	global_load_b64 v[29:30], v24, s[8:9] offset:1072
	v_add_nc_u32_e32 v31, 0x1000, v40
	v_add_nc_u32_e32 v24, 0x800, v40
	global_wb scope:SCOPE_SE
	s_wait_loadcnt_dscnt 0x0
	s_barrier_signal -1
	s_barrier_wait -1
	global_inv scope:SCOPE_SE
	v_mul_f32_e32 v45, v26, v17
	v_mul_f32_e32 v47, v42, v13
	;; [unrolled: 1-line block ×4, first 2 shown]
	v_dual_mul_f32 v28, v28, v18 :: v_dual_mul_f32 v49, v30, v23
	v_fma_f32 v16, v25, v16, -v45
	s_delay_alu instid0(VALU_DEP_2) | instskip(SKIP_4) | instid1(VALU_DEP_2)
	v_fmac_f32_e32 v28, v27, v19
	v_fmac_f32_e32 v26, v25, v17
	v_fma_f32 v17, v27, v18, -v46
	v_mul_f32_e32 v42, v42, v12
	v_fma_f32 v12, v41, v12, -v47
	v_fmac_f32_e32 v42, v41, v13
	v_mul_f32_e32 v48, v44, v15
	s_delay_alu instid0(VALU_DEP_3) | instskip(NEXT) | instid1(VALU_DEP_2)
	v_add_f32_e32 v25, v16, v12
	v_fma_f32 v13, v43, v14, -v48
	v_mul_f32_e32 v44, v44, v14
	v_fma_f32 v14, v29, v22, -v49
	s_delay_alu instid0(VALU_DEP_1) | instskip(NEXT) | instid1(VALU_DEP_3)
	v_dual_add_f32 v18, v17, v13 :: v_dual_add_f32 v27, v12, v14
	v_fmac_f32_e32 v44, v43, v15
	v_dual_mul_f32 v30, v30, v22 :: v_dual_add_f32 v15, v20, v17
	s_delay_alu instid0(VALU_DEP_3) | instskip(NEXT) | instid1(VALU_DEP_2)
	v_dual_sub_f32 v17, v17, v13 :: v_dual_fmac_f32 v16, -0.5, v27
	v_dual_sub_f32 v19, v28, v44 :: v_dual_fmac_f32 v30, v29, v23
	s_delay_alu instid0(VALU_DEP_3) | instskip(NEXT) | instid1(VALU_DEP_2)
	v_dual_add_f32 v22, v21, v28 :: v_dual_add_f32 v15, v15, v13
	v_add_f32_e32 v41, v42, v30
	v_add_f32_e32 v23, v28, v44
	s_delay_alu instid0(VALU_DEP_2) | instskip(NEXT) | instid1(VALU_DEP_2)
	v_dual_add_f32 v29, v26, v42 :: v_dual_fmac_f32 v26, -0.5, v41
	v_dual_fmac_f32 v21, -0.5, v23 :: v_dual_sub_f32 v12, v12, v14
	v_fma_f32 v20, -0.5, v18, v20
	v_add_f32_e32 v14, v25, v14
	s_delay_alu instid0(VALU_DEP_3) | instskip(SKIP_1) | instid1(VALU_DEP_4)
	v_fmamk_f32 v25, v17, 0xbf5db3d7, v21
	v_dual_fmac_f32 v21, 0x3f5db3d7, v17 :: v_dual_sub_f32 v28, v42, v30
	v_fmamk_f32 v23, v19, 0x3f5db3d7, v20
	v_fmac_f32_e32 v20, 0xbf5db3d7, v19
	v_dual_fmamk_f32 v19, v12, 0xbf5db3d7, v26 :: v_dual_add_f32 v18, v22, v44
	s_delay_alu instid0(VALU_DEP_4) | instskip(NEXT) | instid1(VALU_DEP_2)
	v_dual_fmamk_f32 v17, v28, 0x3f5db3d7, v16 :: v_dual_add_f32 v22, v29, v30
	v_mul_f32_e32 v27, 0x3f5db3d7, v19
	s_delay_alu instid0(VALU_DEP_2) | instskip(NEXT) | instid1(VALU_DEP_3)
	v_mul_f32_e32 v29, 0xbf5db3d7, v17
	v_dual_add_f32 v13, v18, v22 :: v_dual_fmac_f32 v16, 0xbf5db3d7, v28
	s_delay_alu instid0(VALU_DEP_3) | instskip(NEXT) | instid1(VALU_DEP_3)
	v_fmac_f32_e32 v27, 0.5, v17
	v_dual_fmac_f32 v29, 0.5, v19 :: v_dual_fmac_f32 v26, 0x3f5db3d7, v12
	v_add_f32_e32 v12, v15, v14
	v_sub_f32_e32 v14, v15, v14
	v_sub_f32_e32 v15, v18, v22
	s_delay_alu instid0(VALU_DEP_4) | instskip(SKIP_1) | instid1(VALU_DEP_2)
	v_dual_add_f32 v17, v25, v29 :: v_dual_mul_f32 v30, -0.5, v26
	v_sub_f32_e32 v22, v23, v27
	v_fmac_f32_e32 v30, 0xbf5db3d7, v16
	v_mul_f32_e32 v28, -0.5, v16
	v_dual_add_f32 v16, v23, v27 :: v_dual_sub_f32 v23, v25, v29
	s_delay_alu instid0(VALU_DEP_3) | instskip(SKIP_1) | instid1(VALU_DEP_4)
	v_add_f32_e32 v19, v21, v30
	v_sub_f32_e32 v21, v21, v30
	v_fmac_f32_e32 v28, 0x3f5db3d7, v26
	s_delay_alu instid0(VALU_DEP_1)
	v_add_f32_e32 v18, v20, v28
	v_sub_f32_e32 v20, v20, v28
	ds_store_2addr_b64 v40, v[12:13], v[16:17] offset1:143
	ds_store_2addr_b64 v24, v[18:19], v[14:15] offset0:30 offset1:173
	ds_store_2addr_b64 v31, v[22:23], v[20:21] offset0:60 offset1:203
	s_and_saveexec_b32 s1, s0
	s_cbranch_execz .LBB0_18
; %bb.17:
	v_add_nc_u32_e32 v12, 0x4e, v34
	v_add_nc_u32_e32 v13, 0xffffffbf, v34
	s_delay_alu instid0(VALU_DEP_1) | instskip(SKIP_1) | instid1(VALU_DEP_2)
	v_cndmask_b32_e64 v12, v13, v12, s0
	v_mov_b32_e32 v13, 0
	v_mul_i32_i24_e32 v12, 5, v12
	s_delay_alu instid0(VALU_DEP_1) | instskip(NEXT) | instid1(VALU_DEP_1)
	v_lshlrev_b64_e32 v[12:13], 3, v[12:13]
	v_add_co_u32 v20, s0, s8, v12
	s_wait_alu 0xf1ff
	s_delay_alu instid0(VALU_DEP_2)
	v_add_co_ci_u32_e64 v21, s0, s9, v13, s0
	s_clause 0x2
	global_load_b128 v[12:15], v[20:21], off offset:1040
	global_load_b128 v[16:19], v[20:21], off offset:1056
	global_load_b64 v[20:21], v[20:21], off offset:1072
	s_wait_loadcnt 0x2
	v_dual_mul_f32 v23, v9, v15 :: v_dual_add_nc_u32 v22, 0x1400, v40
	s_wait_loadcnt 0x1
	v_dual_mul_f32 v25, v1, v19 :: v_dual_mul_f32 v26, v7, v13
	v_mul_f32_e32 v27, v11, v17
	s_wait_loadcnt 0x0
	v_mul_f32_e32 v28, v3, v21
	v_mul_f32_e32 v17, v10, v17
	;; [unrolled: 1-line block ×3, first 2 shown]
	s_delay_alu instid0(VALU_DEP_3) | instskip(NEXT) | instid1(VALU_DEP_3)
	v_fma_f32 v2, v2, v20, -v28
	v_fmac_f32_e32 v17, v11, v16
	s_delay_alu instid0(VALU_DEP_3)
	v_fmac_f32_e32 v21, v3, v20
	v_mul_f32_e32 v15, v8, v15
	v_mul_f32_e32 v19, v0, v19
	v_fma_f32 v8, v8, v14, -v23
	v_fma_f32 v0, v0, v18, -v25
	v_mul_f32_e32 v13, v6, v13
	s_delay_alu instid0(VALU_DEP_2) | instskip(SKIP_4) | instid1(VALU_DEP_1)
	v_sub_f32_e32 v3, v8, v0
	v_fmac_f32_e32 v19, v1, v18
	v_fma_f32 v1, v6, v12, -v26
	v_fma_f32 v6, v10, v16, -v27
	v_fmac_f32_e32 v13, v7, v12
	v_dual_sub_f32 v11, v6, v2 :: v_dual_add_f32 v16, v13, v17
	v_sub_f32_e32 v10, v17, v21
	v_fmac_f32_e32 v15, v9, v14
	v_add_f32_e32 v9, v6, v2
	v_add_f32_e32 v6, v1, v6
	s_delay_alu instid0(VALU_DEP_1) | instskip(SKIP_2) | instid1(VALU_DEP_3)
	v_dual_add_f32 v2, v6, v2 :: v_dual_add_f32 v7, v15, v19
	v_dual_add_f32 v12, v17, v21 :: v_dual_add_f32 v17, v8, v0
	v_add_f32_e32 v8, v4, v8
	v_fma_f32 v18, -0.5, v7, v5
	s_delay_alu instid0(VALU_DEP_1)
	v_fmamk_f32 v6, v3, 0x3f5db3d7, v18
	v_fmac_f32_e32 v18, 0xbf5db3d7, v3
	v_fma_f32 v7, -0.5, v12, v13
	v_add_f32_e32 v12, v16, v21
	v_add_f32_e32 v14, v5, v15
	v_fma_f32 v5, -0.5, v9, v1
	v_fma_f32 v13, -0.5, v17, v4
	s_delay_alu instid0(VALU_DEP_3) | instskip(NEXT) | instid1(VALU_DEP_3)
	v_dual_add_f32 v4, v8, v0 :: v_dual_add_f32 v9, v14, v19
	v_dual_fmamk_f32 v8, v10, 0xbf5db3d7, v5 :: v_dual_sub_f32 v15, v15, v19
	v_fmac_f32_e32 v5, 0x3f5db3d7, v10
	s_delay_alu instid0(VALU_DEP_3) | instskip(SKIP_1) | instid1(VALU_DEP_4)
	v_sub_f32_e32 v0, v4, v2
	v_add_f32_e32 v2, v4, v2
	v_fmamk_f32 v16, v15, 0xbf5db3d7, v13
	v_fmamk_f32 v14, v11, 0x3f5db3d7, v7
	s_delay_alu instid0(VALU_DEP_1) | instskip(NEXT) | instid1(VALU_DEP_1)
	v_dual_fmac_f32 v7, 0xbf5db3d7, v11 :: v_dual_mul_f32 v10, -0.5, v14
	v_fmac_f32_e32 v10, 0xbf5db3d7, v8
	v_fmac_f32_e32 v13, 0x3f5db3d7, v15
	v_mul_f32_e32 v15, -0.5, v8
	s_delay_alu instid0(VALU_DEP_1) | instskip(SKIP_2) | instid1(VALU_DEP_3)
	v_fmac_f32_e32 v15, 0x3f5db3d7, v14
	v_sub_f32_e32 v1, v9, v12
	v_dual_add_f32 v3, v9, v12 :: v_dual_mul_f32 v12, 0x3f5db3d7, v7
	v_dual_add_f32 v9, v6, v10 :: v_dual_add_f32 v8, v16, v15
	v_sub_f32_e32 v4, v16, v15
	s_delay_alu instid0(VALU_DEP_3) | instskip(SKIP_1) | instid1(VALU_DEP_2)
	v_fmac_f32_e32 v12, 0.5, v5
	v_mul_f32_e32 v11, 0xbf5db3d7, v5
	v_dual_sub_f32 v5, v6, v10 :: v_dual_add_f32 v10, v13, v12
	s_delay_alu instid0(VALU_DEP_2) | instskip(NEXT) | instid1(VALU_DEP_1)
	v_dual_fmac_f32 v11, 0.5, v7 :: v_dual_sub_f32 v6, v13, v12
	v_sub_f32_e32 v7, v18, v11
	v_add_f32_e32 v11, v18, v11
	ds_store_2addr_b64 v40, v[2:3], v[10:11] offset0:78 offset1:221
	ds_store_2addr_b64 v24, v[8:9], v[0:1] offset0:108 offset1:251
	;; [unrolled: 1-line block ×3, first 2 shown]
.LBB0_18:
	s_wait_alu 0xfffe
	s_or_b32 exec_lo, exec_lo, s1
	global_wb scope:SCOPE_SE
	s_wait_dscnt 0x0
	s_barrier_signal -1
	s_barrier_wait -1
	global_inv scope:SCOPE_SE
	ds_load_b64 v[0:1], v39
	v_sub_nc_u32_e32 v6, v38, v35
	s_mov_b32 s1, exec_lo
                                        ; implicit-def: $vgpr3
                                        ; implicit-def: $vgpr7
                                        ; implicit-def: $vgpr4_vgpr5
	v_cmpx_ne_u32_e32 0, v34
	s_wait_alu 0xfffe
	s_xor_b32 s1, exec_lo, s1
	s_cbranch_execz .LBB0_20
; %bb.19:
	ds_load_b64 v[7:8], v6 offset:6864
	v_mov_b32_e32 v35, 0
	s_delay_alu instid0(VALU_DEP_1) | instskip(NEXT) | instid1(VALU_DEP_1)
	v_lshlrev_b64_e32 v[2:3], 3, v[34:35]
	v_add_co_u32 v2, s0, s8, v2
	s_wait_alu 0xf1ff
	s_delay_alu instid0(VALU_DEP_2) | instskip(SKIP_4) | instid1(VALU_DEP_2)
	v_add_co_ci_u32_e64 v3, s0, s9, v3, s0
	global_load_b64 v[3:4], v[2:3], off offset:6760
	s_wait_dscnt 0x0
	v_sub_f32_e32 v2, v0, v7
	v_add_f32_e32 v5, v8, v1
	v_dual_sub_f32 v1, v1, v8 :: v_dual_mul_f32 v8, 0.5, v2
	s_delay_alu instid0(VALU_DEP_2) | instskip(NEXT) | instid1(VALU_DEP_2)
	v_mul_f32_e32 v2, 0.5, v5
	v_dual_add_f32 v0, v7, v0 :: v_dual_mul_f32 v1, 0.5, v1
	s_wait_loadcnt 0x0
	s_delay_alu instid0(VALU_DEP_3) | instskip(NEXT) | instid1(VALU_DEP_2)
	v_mul_f32_e32 v5, v4, v8
	v_fma_f32 v7, v2, v4, v1
	v_fma_f32 v1, v2, v4, -v1
	s_delay_alu instid0(VALU_DEP_3) | instskip(SKIP_1) | instid1(VALU_DEP_4)
	v_fma_f32 v9, 0.5, v0, v5
	v_fma_f32 v0, v0, 0.5, -v5
	v_fma_f32 v7, -v3, v8, v7
	v_dual_mov_b32 v4, v34 :: v_dual_mov_b32 v5, v35
	s_delay_alu instid0(VALU_DEP_4) | instskip(NEXT) | instid1(VALU_DEP_4)
	v_fmac_f32_e32 v9, v3, v2
	v_fma_f32 v2, -v3, v2, v0
	v_fma_f32 v3, -v3, v8, v1
                                        ; implicit-def: $vgpr0_vgpr1
	ds_store_b32 v39, v9
.LBB0_20:
	s_wait_alu 0xfffe
	s_and_not1_saveexec_b32 s0, s1
	s_cbranch_execz .LBB0_22
; %bb.21:
	ds_load_b32 v3, v38 offset:3436
	s_wait_dscnt 0x1
	v_dual_mov_b32 v7, 0 :: v_dual_add_f32 v8, v0, v1
	v_mov_b32_e32 v4, 0
	v_dual_sub_f32 v2, v0, v1 :: v_dual_mov_b32 v5, 0
	s_wait_dscnt 0x0
	v_xor_b32_e32 v0, 0x80000000, v3
	v_mov_b32_e32 v3, v7
	ds_store_b32 v39, v8
	ds_store_b32 v38, v0 offset:3436
.LBB0_22:
	s_wait_alu 0xfffe
	s_or_b32 exec_lo, exec_lo, s0
	s_wait_dscnt 0x0
	v_lshlrev_b64_e32 v[0:1], 3, v[4:5]
	s_add_nc_u64 s[0:1], s[8:9], 0x1a68
	s_wait_alu 0xfffe
	s_delay_alu instid0(VALU_DEP_1) | instskip(SKIP_1) | instid1(VALU_DEP_2)
	v_add_co_u32 v0, s0, s0, v0
	s_wait_alu 0xf1ff
	v_add_co_ci_u32_e64 v1, s0, s1, v1, s0
	s_mov_b32 s1, exec_lo
	s_clause 0x3
	global_load_b64 v[4:5], v[0:1], off offset:624
	global_load_b64 v[8:9], v[0:1], off offset:1248
	;; [unrolled: 1-line block ×4, first 2 shown]
	ds_store_b32 v39, v7 offset:4
	ds_store_b64 v6, v[2:3] offset:6864
	ds_load_b64 v[2:3], v39 offset:624
	ds_load_b64 v[14:15], v6 offset:6240
	s_wait_dscnt 0x0
	v_dual_sub_f32 v7, v2, v14 :: v_dual_add_f32 v16, v3, v15
	v_dual_sub_f32 v3, v3, v15 :: v_dual_add_f32 v14, v2, v14
	s_delay_alu instid0(VALU_DEP_2) | instskip(NEXT) | instid1(VALU_DEP_3)
	v_mul_f32_e32 v7, 0.5, v7
	v_mul_f32_e32 v15, 0.5, v16
	s_delay_alu instid0(VALU_DEP_3) | instskip(SKIP_1) | instid1(VALU_DEP_3)
	v_mul_f32_e32 v3, 0.5, v3
	s_wait_loadcnt 0x3
	v_mul_f32_e32 v16, v5, v7
	s_delay_alu instid0(VALU_DEP_2) | instskip(SKIP_1) | instid1(VALU_DEP_3)
	v_fma_f32 v17, v15, v5, v3
	v_fma_f32 v5, v15, v5, -v3
	v_fma_f32 v2, 0.5, v14, v16
	v_fma_f32 v14, v14, 0.5, -v16
	s_delay_alu instid0(VALU_DEP_4) | instskip(NEXT) | instid1(VALU_DEP_4)
	v_fma_f32 v3, -v4, v7, v17
	v_fma_f32 v5, -v4, v7, v5
	s_delay_alu instid0(VALU_DEP_4) | instskip(NEXT) | instid1(VALU_DEP_4)
	v_fmac_f32_e32 v2, v4, v15
	v_fma_f32 v4, -v4, v15, v14
	ds_store_b64 v39, v[2:3] offset:624
	ds_store_b64 v6, v[4:5] offset:6240
	ds_load_b64 v[2:3], v39 offset:1248
	ds_load_b64 v[4:5], v6 offset:5616
	s_wait_dscnt 0x0
	v_dual_sub_f32 v7, v2, v4 :: v_dual_add_f32 v14, v3, v5
	v_dual_sub_f32 v3, v3, v5 :: v_dual_add_f32 v4, v2, v4
	s_delay_alu instid0(VALU_DEP_2) | instskip(NEXT) | instid1(VALU_DEP_3)
	v_mul_f32_e32 v5, 0.5, v7
	v_mul_f32_e32 v7, 0.5, v14
	s_wait_loadcnt 0x2
	s_delay_alu instid0(VALU_DEP_2) | instskip(NEXT) | instid1(VALU_DEP_1)
	v_dual_mul_f32 v3, 0.5, v3 :: v_dual_mul_f32 v14, v9, v5
	v_fma_f32 v15, v7, v9, v3
	v_fma_f32 v9, v7, v9, -v3
	s_delay_alu instid0(VALU_DEP_3) | instskip(SKIP_1) | instid1(VALU_DEP_4)
	v_fma_f32 v2, 0.5, v4, v14
	v_fma_f32 v4, v4, 0.5, -v14
	v_fma_f32 v3, -v8, v5, v15
	s_delay_alu instid0(VALU_DEP_4) | instskip(NEXT) | instid1(VALU_DEP_4)
	v_fma_f32 v5, -v8, v5, v9
	v_fmac_f32_e32 v2, v8, v7
	s_delay_alu instid0(VALU_DEP_4)
	v_fma_f32 v4, -v8, v7, v4
	ds_store_b64 v39, v[2:3] offset:1248
	ds_store_b64 v6, v[4:5] offset:5616
	ds_load_b64 v[2:3], v39 offset:1872
	ds_load_b64 v[4:5], v6 offset:4992
	s_wait_dscnt 0x0
	v_dual_sub_f32 v7, v2, v4 :: v_dual_add_f32 v8, v3, v5
	v_dual_sub_f32 v3, v3, v5 :: v_dual_add_f32 v4, v2, v4
	s_delay_alu instid0(VALU_DEP_2) | instskip(NEXT) | instid1(VALU_DEP_3)
	v_mul_f32_e32 v5, 0.5, v7
	v_mul_f32_e32 v7, 0.5, v8
	s_wait_loadcnt 0x1
	s_delay_alu instid0(VALU_DEP_2) | instskip(NEXT) | instid1(VALU_DEP_1)
	v_dual_mul_f32 v3, 0.5, v3 :: v_dual_mul_f32 v8, v11, v5
	v_fma_f32 v9, v7, v11, v3
	v_fma_f32 v11, v7, v11, -v3
	s_delay_alu instid0(VALU_DEP_3) | instskip(SKIP_1) | instid1(VALU_DEP_4)
	v_fma_f32 v2, 0.5, v4, v8
	v_fma_f32 v4, v4, 0.5, -v8
	v_fma_f32 v3, -v10, v5, v9
	s_delay_alu instid0(VALU_DEP_4) | instskip(NEXT) | instid1(VALU_DEP_4)
	v_fma_f32 v5, -v10, v5, v11
	v_fmac_f32_e32 v2, v10, v7
	s_delay_alu instid0(VALU_DEP_4)
	;; [unrolled: 24-line block ×3, first 2 shown]
	v_fma_f32 v4, -v12, v7, v4
	ds_store_b64 v39, v[2:3] offset:2496
	ds_store_b64 v6, v[4:5] offset:4368
	v_cmpx_gt_u32_e32 39, v34
	s_cbranch_execz .LBB0_24
; %bb.23:
	global_load_b64 v[0:1], v[0:1], off offset:3120
	ds_load_b64 v[2:3], v39 offset:3120
	ds_load_b64 v[4:5], v6 offset:3744
	s_wait_dscnt 0x0
	v_dual_sub_f32 v7, v2, v4 :: v_dual_add_f32 v8, v3, v5
	v_dual_sub_f32 v3, v3, v5 :: v_dual_add_f32 v2, v2, v4
	s_delay_alu instid0(VALU_DEP_2) | instskip(NEXT) | instid1(VALU_DEP_3)
	v_mul_f32_e32 v5, 0.5, v7
	v_mul_f32_e32 v7, 0.5, v8
	s_wait_loadcnt 0x0
	s_delay_alu instid0(VALU_DEP_2) | instskip(NEXT) | instid1(VALU_DEP_1)
	v_dual_mul_f32 v3, 0.5, v3 :: v_dual_mul_f32 v4, v1, v5
	v_fma_f32 v8, v7, v1, v3
	v_fma_f32 v3, v7, v1, -v3
	s_delay_alu instid0(VALU_DEP_3) | instskip(SKIP_1) | instid1(VALU_DEP_4)
	v_fma_f32 v1, 0.5, v2, v4
	v_fma_f32 v9, v2, 0.5, -v4
	v_fma_f32 v2, -v0, v5, v8
	s_delay_alu instid0(VALU_DEP_4) | instskip(NEXT) | instid1(VALU_DEP_4)
	v_fma_f32 v4, -v0, v5, v3
	v_fmac_f32_e32 v1, v0, v7
	s_delay_alu instid0(VALU_DEP_4)
	v_fma_f32 v3, -v0, v7, v9
	ds_store_b64 v39, v[1:2] offset:3120
	ds_store_b64 v6, v[3:4] offset:3744
.LBB0_24:
	s_wait_alu 0xfffe
	s_or_b32 exec_lo, exec_lo, s1
	global_wb scope:SCOPE_SE
	s_wait_dscnt 0x0
	s_barrier_signal -1
	s_barrier_wait -1
	global_inv scope:SCOPE_SE
	s_and_saveexec_b32 s0, vcc_lo
	s_cbranch_execz .LBB0_27
; %bb.25:
	v_mul_lo_u32 v3, s3, v36
	v_mul_lo_u32 v4, s2, v37
	v_mad_co_u64_u32 v[0:1], null, s2, v36, 0
	v_mov_b32_e32 v35, 0
	v_lshlrev_b64_e32 v[11:12], 3, v[32:33]
	v_lshl_add_u32 v2, v34, 3, v38
	v_add_nc_u32_e32 v15, 0x9c, v34
	s_delay_alu instid0(VALU_DEP_4)
	v_dual_mov_b32 v14, v35 :: v_dual_add_nc_u32 v13, 0x4e, v34
	v_add3_u32 v1, v1, v4, v3
	v_lshlrev_b64_e32 v[17:18], 3, v[34:35]
	v_mov_b32_e32 v16, v35
	ds_load_2addr_b64 v[3:6], v2 offset1:78
	ds_load_2addr_b64 v[7:10], v2 offset0:156 offset1:234
	v_lshlrev_b64_e32 v[0:1], 3, v[0:1]
	v_lshlrev_b64_e32 v[13:14], 3, v[13:14]
	v_dual_mov_b32 v20, v35 :: v_dual_add_nc_u32 v19, 0x138, v34
	v_dual_mov_b32 v22, v35 :: v_dual_add_nc_u32 v23, 0x800, v2
	s_delay_alu instid0(VALU_DEP_4) | instskip(SKIP_3) | instid1(VALU_DEP_3)
	v_add_co_u32 v0, vcc_lo, s6, v0
	s_wait_alu 0xfffd
	v_add_co_ci_u32_e32 v1, vcc_lo, s7, v1, vcc_lo
	v_add_nc_u32_e32 v21, 0x186, v34
	v_add_co_u32 v0, vcc_lo, v0, v11
	s_wait_alu 0xfffd
	s_delay_alu instid0(VALU_DEP_3) | instskip(SKIP_1) | instid1(VALU_DEP_3)
	v_add_co_ci_u32_e32 v1, vcc_lo, v1, v12, vcc_lo
	v_lshlrev_b64_e32 v[11:12], 3, v[15:16]
	v_add_co_u32 v15, vcc_lo, v0, v17
	s_wait_alu 0xfffd
	s_delay_alu instid0(VALU_DEP_3) | instskip(SKIP_4) | instid1(VALU_DEP_3)
	v_add_co_ci_u32_e32 v16, vcc_lo, v1, v18, vcc_lo
	v_dual_mov_b32 v18, v35 :: v_dual_add_nc_u32 v17, 0xea, v34
	v_add_co_u32 v13, vcc_lo, v0, v13
	s_wait_alu 0xfffd
	v_add_co_ci_u32_e32 v14, vcc_lo, v1, v14, vcc_lo
	v_lshlrev_b64_e32 v[17:18], 3, v[17:18]
	v_add_co_u32 v11, vcc_lo, v0, v11
	s_wait_alu 0xfffd
	v_add_co_ci_u32_e32 v12, vcc_lo, v1, v12, vcc_lo
	v_mov_b32_e32 v28, v35
	s_delay_alu instid0(VALU_DEP_4)
	v_add_co_u32 v17, vcc_lo, v0, v17
	s_wait_alu 0xfffd
	v_add_co_ci_u32_e32 v18, vcc_lo, v1, v18, vcc_lo
	s_wait_dscnt 0x1
	s_clause 0x1
	global_store_b64 v[15:16], v[3:4], off
	global_store_b64 v[13:14], v[5:6], off
	s_wait_dscnt 0x0
	s_clause 0x1
	global_store_b64 v[11:12], v[7:8], off
	global_store_b64 v[17:18], v[9:10], off
	v_lshlrev_b64_e32 v[7:8], 3, v[19:20]
	v_dual_mov_b32 v14, v35 :: v_dual_add_nc_u32 v11, 0x1d4, v34
	v_mov_b32_e32 v12, v35
	v_lshlrev_b64_e32 v[9:10], 3, v[21:22]
	v_add_nc_u32_e32 v13, 0x222, v34
	v_add_co_u32 v15, vcc_lo, v0, v7
	s_delay_alu instid0(VALU_DEP_4)
	v_lshlrev_b64_e32 v[11:12], 3, v[11:12]
	s_wait_alu 0xfffd
	v_add_co_ci_u32_e32 v16, vcc_lo, v1, v8, vcc_lo
	v_add_co_u32 v17, vcc_lo, v0, v9
	s_wait_alu 0xfffd
	v_add_co_ci_u32_e32 v18, vcc_lo, v1, v10, vcc_lo
	v_add_co_u32 v19, vcc_lo, v0, v11
	v_add_nc_u32_e32 v21, 0x270, v34
	s_wait_alu 0xfffd
	v_add_co_ci_u32_e32 v20, vcc_lo, v1, v12, vcc_lo
	v_lshlrev_b64_e32 v[11:12], 3, v[13:14]
	v_dual_mov_b32 v24, v35 :: v_dual_add_nc_u32 v7, 0xc00, v2
	ds_load_2addr_b64 v[3:6], v23 offset0:56 offset1:134
	v_add_nc_u32_e32 v23, 0x2be, v34
	v_add_nc_u32_e32 v13, 0x1000, v2
	v_lshlrev_b64_e32 v[21:22], 3, v[21:22]
	v_add_nc_u32_e32 v27, 0x30c, v34
	ds_load_2addr_b64 v[7:10], v7 offset0:84 offset1:162
	v_add_co_u32 v25, vcc_lo, v0, v11
	v_lshlrev_b64_e32 v[23:24], 3, v[23:24]
	s_wait_alu 0xfffd
	v_add_co_ci_u32_e32 v26, vcc_lo, v1, v12, vcc_lo
	ds_load_2addr_b64 v[11:14], v13 offset0:112 offset1:190
	ds_load_b64 v[29:30], v2 offset:6240
	v_add_co_u32 v21, vcc_lo, v0, v21
	v_lshlrev_b64_e32 v[27:28], 3, v[27:28]
	s_wait_alu 0xfffd
	v_add_co_ci_u32_e32 v22, vcc_lo, v1, v22, vcc_lo
	v_add_co_u32 v23, vcc_lo, v0, v23
	s_wait_alu 0xfffd
	v_add_co_ci_u32_e32 v24, vcc_lo, v1, v24, vcc_lo
	v_add_co_u32 v27, vcc_lo, v0, v27
	s_wait_alu 0xfffd
	v_add_co_ci_u32_e32 v28, vcc_lo, v1, v28, vcc_lo
	v_cmp_eq_u32_e32 vcc_lo, 0x4d, v34
	s_wait_dscnt 0x3
	s_clause 0x1
	global_store_b64 v[15:16], v[3:4], off
	global_store_b64 v[17:18], v[5:6], off
	s_wait_dscnt 0x2
	s_clause 0x1
	global_store_b64 v[19:20], v[7:8], off
	global_store_b64 v[25:26], v[9:10], off
	;; [unrolled: 4-line block ×3, first 2 shown]
	s_wait_dscnt 0x0
	global_store_b64 v[27:28], v[29:30], off
	s_and_b32 exec_lo, exec_lo, vcc_lo
	s_cbranch_execz .LBB0_27
; %bb.26:
	ds_load_b64 v[2:3], v2 offset:6248
	s_wait_dscnt 0x0
	global_store_b64 v[0:1], v[2:3], off offset:6864
.LBB0_27:
	s_nop 0
	s_sendmsg sendmsg(MSG_DEALLOC_VGPRS)
	s_endpgm
	.section	.rodata,"a",@progbits
	.p2align	6, 0x0
	.amdhsa_kernel fft_rtc_fwd_len858_factors_13_11_6_wgs_234_tpt_78_halfLds_sp_op_CI_CI_unitstride_sbrr_R2C_dirReg
		.amdhsa_group_segment_fixed_size 0
		.amdhsa_private_segment_fixed_size 0
		.amdhsa_kernarg_size 104
		.amdhsa_user_sgpr_count 2
		.amdhsa_user_sgpr_dispatch_ptr 0
		.amdhsa_user_sgpr_queue_ptr 0
		.amdhsa_user_sgpr_kernarg_segment_ptr 1
		.amdhsa_user_sgpr_dispatch_id 0
		.amdhsa_user_sgpr_private_segment_size 0
		.amdhsa_wavefront_size32 1
		.amdhsa_uses_dynamic_stack 0
		.amdhsa_enable_private_segment 0
		.amdhsa_system_sgpr_workgroup_id_x 1
		.amdhsa_system_sgpr_workgroup_id_y 0
		.amdhsa_system_sgpr_workgroup_id_z 0
		.amdhsa_system_sgpr_workgroup_info 0
		.amdhsa_system_vgpr_workitem_id 0
		.amdhsa_next_free_vgpr 133
		.amdhsa_next_free_sgpr 39
		.amdhsa_reserve_vcc 1
		.amdhsa_float_round_mode_32 0
		.amdhsa_float_round_mode_16_64 0
		.amdhsa_float_denorm_mode_32 3
		.amdhsa_float_denorm_mode_16_64 3
		.amdhsa_fp16_overflow 0
		.amdhsa_workgroup_processor_mode 1
		.amdhsa_memory_ordered 1
		.amdhsa_forward_progress 0
		.amdhsa_round_robin_scheduling 0
		.amdhsa_exception_fp_ieee_invalid_op 0
		.amdhsa_exception_fp_denorm_src 0
		.amdhsa_exception_fp_ieee_div_zero 0
		.amdhsa_exception_fp_ieee_overflow 0
		.amdhsa_exception_fp_ieee_underflow 0
		.amdhsa_exception_fp_ieee_inexact 0
		.amdhsa_exception_int_div_zero 0
	.end_amdhsa_kernel
	.text
.Lfunc_end0:
	.size	fft_rtc_fwd_len858_factors_13_11_6_wgs_234_tpt_78_halfLds_sp_op_CI_CI_unitstride_sbrr_R2C_dirReg, .Lfunc_end0-fft_rtc_fwd_len858_factors_13_11_6_wgs_234_tpt_78_halfLds_sp_op_CI_CI_unitstride_sbrr_R2C_dirReg
                                        ; -- End function
	.section	.AMDGPU.csdata,"",@progbits
; Kernel info:
; codeLenInByte = 10924
; NumSgprs: 41
; NumVgprs: 133
; ScratchSize: 0
; MemoryBound: 0
; FloatMode: 240
; IeeeMode: 1
; LDSByteSize: 0 bytes/workgroup (compile time only)
; SGPRBlocks: 5
; VGPRBlocks: 16
; NumSGPRsForWavesPerEU: 41
; NumVGPRsForWavesPerEU: 133
; Occupancy: 10
; WaveLimiterHint : 1
; COMPUTE_PGM_RSRC2:SCRATCH_EN: 0
; COMPUTE_PGM_RSRC2:USER_SGPR: 2
; COMPUTE_PGM_RSRC2:TRAP_HANDLER: 0
; COMPUTE_PGM_RSRC2:TGID_X_EN: 1
; COMPUTE_PGM_RSRC2:TGID_Y_EN: 0
; COMPUTE_PGM_RSRC2:TGID_Z_EN: 0
; COMPUTE_PGM_RSRC2:TIDIG_COMP_CNT: 0
	.text
	.p2alignl 7, 3214868480
	.fill 96, 4, 3214868480
	.type	__hip_cuid_69e5599fe2350a61,@object ; @__hip_cuid_69e5599fe2350a61
	.section	.bss,"aw",@nobits
	.globl	__hip_cuid_69e5599fe2350a61
__hip_cuid_69e5599fe2350a61:
	.byte	0                               ; 0x0
	.size	__hip_cuid_69e5599fe2350a61, 1

	.ident	"AMD clang version 19.0.0git (https://github.com/RadeonOpenCompute/llvm-project roc-6.4.0 25133 c7fe45cf4b819c5991fe208aaa96edf142730f1d)"
	.section	".note.GNU-stack","",@progbits
	.addrsig
	.addrsig_sym __hip_cuid_69e5599fe2350a61
	.amdgpu_metadata
---
amdhsa.kernels:
  - .args:
      - .actual_access:  read_only
        .address_space:  global
        .offset:         0
        .size:           8
        .value_kind:     global_buffer
      - .offset:         8
        .size:           8
        .value_kind:     by_value
      - .actual_access:  read_only
        .address_space:  global
        .offset:         16
        .size:           8
        .value_kind:     global_buffer
      - .actual_access:  read_only
        .address_space:  global
        .offset:         24
        .size:           8
        .value_kind:     global_buffer
      - .actual_access:  read_only
        .address_space:  global
        .offset:         32
        .size:           8
        .value_kind:     global_buffer
      - .offset:         40
        .size:           8
        .value_kind:     by_value
      - .actual_access:  read_only
        .address_space:  global
        .offset:         48
        .size:           8
        .value_kind:     global_buffer
      - .actual_access:  read_only
        .address_space:  global
        .offset:         56
        .size:           8
        .value_kind:     global_buffer
      - .offset:         64
        .size:           4
        .value_kind:     by_value
      - .actual_access:  read_only
        .address_space:  global
        .offset:         72
        .size:           8
        .value_kind:     global_buffer
      - .actual_access:  read_only
        .address_space:  global
        .offset:         80
        .size:           8
        .value_kind:     global_buffer
      - .actual_access:  read_only
        .address_space:  global
        .offset:         88
        .size:           8
        .value_kind:     global_buffer
      - .actual_access:  write_only
        .address_space:  global
        .offset:         96
        .size:           8
        .value_kind:     global_buffer
    .group_segment_fixed_size: 0
    .kernarg_segment_align: 8
    .kernarg_segment_size: 104
    .language:       OpenCL C
    .language_version:
      - 2
      - 0
    .max_flat_workgroup_size: 234
    .name:           fft_rtc_fwd_len858_factors_13_11_6_wgs_234_tpt_78_halfLds_sp_op_CI_CI_unitstride_sbrr_R2C_dirReg
    .private_segment_fixed_size: 0
    .sgpr_count:     41
    .sgpr_spill_count: 0
    .symbol:         fft_rtc_fwd_len858_factors_13_11_6_wgs_234_tpt_78_halfLds_sp_op_CI_CI_unitstride_sbrr_R2C_dirReg.kd
    .uniform_work_group_size: 1
    .uses_dynamic_stack: false
    .vgpr_count:     133
    .vgpr_spill_count: 0
    .wavefront_size: 32
    .workgroup_processor_mode: 1
amdhsa.target:   amdgcn-amd-amdhsa--gfx1201
amdhsa.version:
  - 1
  - 2
...

	.end_amdgpu_metadata
